;; amdgpu-corpus repo=ROCm/hipCUB kind=compiled arch=gfx90a opt=O3
	.text
	.amdgcn_target "amdgcn-amd-amdhsa--gfx90a"
	.amdhsa_code_object_version 6
	.section	.text._Z16operation_kernelIiLj256ELj1EL23memory_operation_method0E9operationIL16kernel_operation0EiLj1ELj256EEEvPT_S5_T3_,"axG",@progbits,_Z16operation_kernelIiLj256ELj1EL23memory_operation_method0E9operationIL16kernel_operation0EiLj1ELj256EEEvPT_S5_T3_,comdat
	.protected	_Z16operation_kernelIiLj256ELj1EL23memory_operation_method0E9operationIL16kernel_operation0EiLj1ELj256EEEvPT_S5_T3_ ; -- Begin function _Z16operation_kernelIiLj256ELj1EL23memory_operation_method0E9operationIL16kernel_operation0EiLj1ELj256EEEvPT_S5_T3_
	.globl	_Z16operation_kernelIiLj256ELj1EL23memory_operation_method0E9operationIL16kernel_operation0EiLj1ELj256EEEvPT_S5_T3_
	.p2align	8
	.type	_Z16operation_kernelIiLj256ELj1EL23memory_operation_method0E9operationIL16kernel_operation0EiLj1ELj256EEEvPT_S5_T3_,@function
_Z16operation_kernelIiLj256ELj1EL23memory_operation_method0E9operationIL16kernel_operation0EiLj1ELj256EEEvPT_S5_T3_: ; @_Z16operation_kernelIiLj256ELj1EL23memory_operation_method0E9operationIL16kernel_operation0EiLj1ELj256EEEvPT_S5_T3_
; %bb.0:
	s_load_dwordx4 s[0:3], s[4:5], 0x0
	s_lshl_b32 s4, s6, 8
	s_mov_b32 s5, 0
	s_lshl_b64 s[4:5], s[4:5], 2
	v_lshlrev_b32_e32 v0, 2, v0
	s_waitcnt lgkmcnt(0)
	s_add_u32 s0, s0, s4
	s_addc_u32 s1, s1, s5
	global_load_dword v1, v0, s[0:1]
	s_add_u32 s0, s2, s4
	s_addc_u32 s1, s3, s5
	s_barrier
	s_waitcnt vmcnt(0)
	global_store_dword v0, v1, s[0:1]
	s_endpgm
	.section	.rodata,"a",@progbits
	.p2align	6, 0x0
	.amdhsa_kernel _Z16operation_kernelIiLj256ELj1EL23memory_operation_method0E9operationIL16kernel_operation0EiLj1ELj256EEEvPT_S5_T3_
		.amdhsa_group_segment_fixed_size 0
		.amdhsa_private_segment_fixed_size 0
		.amdhsa_kernarg_size 20
		.amdhsa_user_sgpr_count 6
		.amdhsa_user_sgpr_private_segment_buffer 1
		.amdhsa_user_sgpr_dispatch_ptr 0
		.amdhsa_user_sgpr_queue_ptr 0
		.amdhsa_user_sgpr_kernarg_segment_ptr 1
		.amdhsa_user_sgpr_dispatch_id 0
		.amdhsa_user_sgpr_flat_scratch_init 0
		.amdhsa_user_sgpr_kernarg_preload_length 0
		.amdhsa_user_sgpr_kernarg_preload_offset 0
		.amdhsa_user_sgpr_private_segment_size 0
		.amdhsa_uses_dynamic_stack 0
		.amdhsa_system_sgpr_private_segment_wavefront_offset 0
		.amdhsa_system_sgpr_workgroup_id_x 1
		.amdhsa_system_sgpr_workgroup_id_y 0
		.amdhsa_system_sgpr_workgroup_id_z 0
		.amdhsa_system_sgpr_workgroup_info 0
		.amdhsa_system_vgpr_workitem_id 0
		.amdhsa_next_free_vgpr 2
		.amdhsa_next_free_sgpr 7
		.amdhsa_accum_offset 4
		.amdhsa_reserve_vcc 0
		.amdhsa_reserve_flat_scratch 0
		.amdhsa_float_round_mode_32 0
		.amdhsa_float_round_mode_16_64 0
		.amdhsa_float_denorm_mode_32 3
		.amdhsa_float_denorm_mode_16_64 3
		.amdhsa_dx10_clamp 1
		.amdhsa_ieee_mode 1
		.amdhsa_fp16_overflow 0
		.amdhsa_tg_split 0
		.amdhsa_exception_fp_ieee_invalid_op 0
		.amdhsa_exception_fp_denorm_src 0
		.amdhsa_exception_fp_ieee_div_zero 0
		.amdhsa_exception_fp_ieee_overflow 0
		.amdhsa_exception_fp_ieee_underflow 0
		.amdhsa_exception_fp_ieee_inexact 0
		.amdhsa_exception_int_div_zero 0
	.end_amdhsa_kernel
	.section	.text._Z16operation_kernelIiLj256ELj1EL23memory_operation_method0E9operationIL16kernel_operation0EiLj1ELj256EEEvPT_S5_T3_,"axG",@progbits,_Z16operation_kernelIiLj256ELj1EL23memory_operation_method0E9operationIL16kernel_operation0EiLj1ELj256EEEvPT_S5_T3_,comdat
.Lfunc_end0:
	.size	_Z16operation_kernelIiLj256ELj1EL23memory_operation_method0E9operationIL16kernel_operation0EiLj1ELj256EEEvPT_S5_T3_, .Lfunc_end0-_Z16operation_kernelIiLj256ELj1EL23memory_operation_method0E9operationIL16kernel_operation0EiLj1ELj256EEEvPT_S5_T3_
                                        ; -- End function
	.section	.AMDGPU.csdata,"",@progbits
; Kernel info:
; codeLenInByte = 72
; NumSgprs: 11
; NumVgprs: 2
; NumAgprs: 0
; TotalNumVgprs: 2
; ScratchSize: 0
; MemoryBound: 0
; FloatMode: 240
; IeeeMode: 1
; LDSByteSize: 0 bytes/workgroup (compile time only)
; SGPRBlocks: 1
; VGPRBlocks: 0
; NumSGPRsForWavesPerEU: 11
; NumVGPRsForWavesPerEU: 2
; AccumOffset: 4
; Occupancy: 8
; WaveLimiterHint : 0
; COMPUTE_PGM_RSRC2:SCRATCH_EN: 0
; COMPUTE_PGM_RSRC2:USER_SGPR: 6
; COMPUTE_PGM_RSRC2:TRAP_HANDLER: 0
; COMPUTE_PGM_RSRC2:TGID_X_EN: 1
; COMPUTE_PGM_RSRC2:TGID_Y_EN: 0
; COMPUTE_PGM_RSRC2:TGID_Z_EN: 0
; COMPUTE_PGM_RSRC2:TIDIG_COMP_CNT: 0
; COMPUTE_PGM_RSRC3_GFX90A:ACCUM_OFFSET: 0
; COMPUTE_PGM_RSRC3_GFX90A:TG_SPLIT: 0
	.section	.text._Z16operation_kernelIiLj256ELj2EL23memory_operation_method0E9operationIL16kernel_operation0EiLj2ELj256EEEvPT_S5_T3_,"axG",@progbits,_Z16operation_kernelIiLj256ELj2EL23memory_operation_method0E9operationIL16kernel_operation0EiLj2ELj256EEEvPT_S5_T3_,comdat
	.protected	_Z16operation_kernelIiLj256ELj2EL23memory_operation_method0E9operationIL16kernel_operation0EiLj2ELj256EEEvPT_S5_T3_ ; -- Begin function _Z16operation_kernelIiLj256ELj2EL23memory_operation_method0E9operationIL16kernel_operation0EiLj2ELj256EEEvPT_S5_T3_
	.globl	_Z16operation_kernelIiLj256ELj2EL23memory_operation_method0E9operationIL16kernel_operation0EiLj2ELj256EEEvPT_S5_T3_
	.p2align	8
	.type	_Z16operation_kernelIiLj256ELj2EL23memory_operation_method0E9operationIL16kernel_operation0EiLj2ELj256EEEvPT_S5_T3_,@function
_Z16operation_kernelIiLj256ELj2EL23memory_operation_method0E9operationIL16kernel_operation0EiLj2ELj256EEEvPT_S5_T3_: ; @_Z16operation_kernelIiLj256ELj2EL23memory_operation_method0E9operationIL16kernel_operation0EiLj2ELj256EEEvPT_S5_T3_
; %bb.0:
	s_load_dwordx4 s[0:3], s[4:5], 0x0
	s_lshl_b32 s4, s6, 9
	s_mov_b32 s5, 0
	s_lshl_b64 s[4:5], s[4:5], 2
	v_lshlrev_b32_e32 v2, 3, v0
	s_waitcnt lgkmcnt(0)
	s_add_u32 s0, s0, s4
	s_addc_u32 s1, s1, s5
	global_load_dwordx2 v[0:1], v2, s[0:1]
	s_add_u32 s0, s2, s4
	s_addc_u32 s1, s3, s5
	s_barrier
	s_waitcnt vmcnt(0)
	global_store_dwordx2 v2, v[0:1], s[0:1]
	s_endpgm
	.section	.rodata,"a",@progbits
	.p2align	6, 0x0
	.amdhsa_kernel _Z16operation_kernelIiLj256ELj2EL23memory_operation_method0E9operationIL16kernel_operation0EiLj2ELj256EEEvPT_S5_T3_
		.amdhsa_group_segment_fixed_size 0
		.amdhsa_private_segment_fixed_size 0
		.amdhsa_kernarg_size 20
		.amdhsa_user_sgpr_count 6
		.amdhsa_user_sgpr_private_segment_buffer 1
		.amdhsa_user_sgpr_dispatch_ptr 0
		.amdhsa_user_sgpr_queue_ptr 0
		.amdhsa_user_sgpr_kernarg_segment_ptr 1
		.amdhsa_user_sgpr_dispatch_id 0
		.amdhsa_user_sgpr_flat_scratch_init 0
		.amdhsa_user_sgpr_kernarg_preload_length 0
		.amdhsa_user_sgpr_kernarg_preload_offset 0
		.amdhsa_user_sgpr_private_segment_size 0
		.amdhsa_uses_dynamic_stack 0
		.amdhsa_system_sgpr_private_segment_wavefront_offset 0
		.amdhsa_system_sgpr_workgroup_id_x 1
		.amdhsa_system_sgpr_workgroup_id_y 0
		.amdhsa_system_sgpr_workgroup_id_z 0
		.amdhsa_system_sgpr_workgroup_info 0
		.amdhsa_system_vgpr_workitem_id 0
		.amdhsa_next_free_vgpr 3
		.amdhsa_next_free_sgpr 7
		.amdhsa_accum_offset 4
		.amdhsa_reserve_vcc 0
		.amdhsa_reserve_flat_scratch 0
		.amdhsa_float_round_mode_32 0
		.amdhsa_float_round_mode_16_64 0
		.amdhsa_float_denorm_mode_32 3
		.amdhsa_float_denorm_mode_16_64 3
		.amdhsa_dx10_clamp 1
		.amdhsa_ieee_mode 1
		.amdhsa_fp16_overflow 0
		.amdhsa_tg_split 0
		.amdhsa_exception_fp_ieee_invalid_op 0
		.amdhsa_exception_fp_denorm_src 0
		.amdhsa_exception_fp_ieee_div_zero 0
		.amdhsa_exception_fp_ieee_overflow 0
		.amdhsa_exception_fp_ieee_underflow 0
		.amdhsa_exception_fp_ieee_inexact 0
		.amdhsa_exception_int_div_zero 0
	.end_amdhsa_kernel
	.section	.text._Z16operation_kernelIiLj256ELj2EL23memory_operation_method0E9operationIL16kernel_operation0EiLj2ELj256EEEvPT_S5_T3_,"axG",@progbits,_Z16operation_kernelIiLj256ELj2EL23memory_operation_method0E9operationIL16kernel_operation0EiLj2ELj256EEEvPT_S5_T3_,comdat
.Lfunc_end1:
	.size	_Z16operation_kernelIiLj256ELj2EL23memory_operation_method0E9operationIL16kernel_operation0EiLj2ELj256EEEvPT_S5_T3_, .Lfunc_end1-_Z16operation_kernelIiLj256ELj2EL23memory_operation_method0E9operationIL16kernel_operation0EiLj2ELj256EEEvPT_S5_T3_
                                        ; -- End function
	.section	.AMDGPU.csdata,"",@progbits
; Kernel info:
; codeLenInByte = 72
; NumSgprs: 11
; NumVgprs: 3
; NumAgprs: 0
; TotalNumVgprs: 3
; ScratchSize: 0
; MemoryBound: 0
; FloatMode: 240
; IeeeMode: 1
; LDSByteSize: 0 bytes/workgroup (compile time only)
; SGPRBlocks: 1
; VGPRBlocks: 0
; NumSGPRsForWavesPerEU: 11
; NumVGPRsForWavesPerEU: 3
; AccumOffset: 4
; Occupancy: 8
; WaveLimiterHint : 0
; COMPUTE_PGM_RSRC2:SCRATCH_EN: 0
; COMPUTE_PGM_RSRC2:USER_SGPR: 6
; COMPUTE_PGM_RSRC2:TRAP_HANDLER: 0
; COMPUTE_PGM_RSRC2:TGID_X_EN: 1
; COMPUTE_PGM_RSRC2:TGID_Y_EN: 0
; COMPUTE_PGM_RSRC2:TGID_Z_EN: 0
; COMPUTE_PGM_RSRC2:TIDIG_COMP_CNT: 0
; COMPUTE_PGM_RSRC3_GFX90A:ACCUM_OFFSET: 0
; COMPUTE_PGM_RSRC3_GFX90A:TG_SPLIT: 0
	.section	.text._Z16operation_kernelIiLj256ELj4EL23memory_operation_method0E9operationIL16kernel_operation0EiLj4ELj256EEEvPT_S5_T3_,"axG",@progbits,_Z16operation_kernelIiLj256ELj4EL23memory_operation_method0E9operationIL16kernel_operation0EiLj4ELj256EEEvPT_S5_T3_,comdat
	.protected	_Z16operation_kernelIiLj256ELj4EL23memory_operation_method0E9operationIL16kernel_operation0EiLj4ELj256EEEvPT_S5_T3_ ; -- Begin function _Z16operation_kernelIiLj256ELj4EL23memory_operation_method0E9operationIL16kernel_operation0EiLj4ELj256EEEvPT_S5_T3_
	.globl	_Z16operation_kernelIiLj256ELj4EL23memory_operation_method0E9operationIL16kernel_operation0EiLj4ELj256EEEvPT_S5_T3_
	.p2align	8
	.type	_Z16operation_kernelIiLj256ELj4EL23memory_operation_method0E9operationIL16kernel_operation0EiLj4ELj256EEEvPT_S5_T3_,@function
_Z16operation_kernelIiLj256ELj4EL23memory_operation_method0E9operationIL16kernel_operation0EiLj4ELj256EEEvPT_S5_T3_: ; @_Z16operation_kernelIiLj256ELj4EL23memory_operation_method0E9operationIL16kernel_operation0EiLj4ELj256EEEvPT_S5_T3_
; %bb.0:
	s_load_dwordx4 s[0:3], s[4:5], 0x0
	s_lshl_b32 s4, s6, 10
	s_mov_b32 s5, 0
	s_lshl_b64 s[4:5], s[4:5], 2
	v_lshlrev_b32_e32 v4, 4, v0
	s_waitcnt lgkmcnt(0)
	s_add_u32 s0, s0, s4
	s_addc_u32 s1, s1, s5
	global_load_dwordx4 v[0:3], v4, s[0:1]
	s_add_u32 s0, s2, s4
	s_addc_u32 s1, s3, s5
	s_barrier
	s_waitcnt vmcnt(0)
	global_store_dwordx4 v4, v[0:3], s[0:1]
	s_endpgm
	.section	.rodata,"a",@progbits
	.p2align	6, 0x0
	.amdhsa_kernel _Z16operation_kernelIiLj256ELj4EL23memory_operation_method0E9operationIL16kernel_operation0EiLj4ELj256EEEvPT_S5_T3_
		.amdhsa_group_segment_fixed_size 0
		.amdhsa_private_segment_fixed_size 0
		.amdhsa_kernarg_size 20
		.amdhsa_user_sgpr_count 6
		.amdhsa_user_sgpr_private_segment_buffer 1
		.amdhsa_user_sgpr_dispatch_ptr 0
		.amdhsa_user_sgpr_queue_ptr 0
		.amdhsa_user_sgpr_kernarg_segment_ptr 1
		.amdhsa_user_sgpr_dispatch_id 0
		.amdhsa_user_sgpr_flat_scratch_init 0
		.amdhsa_user_sgpr_kernarg_preload_length 0
		.amdhsa_user_sgpr_kernarg_preload_offset 0
		.amdhsa_user_sgpr_private_segment_size 0
		.amdhsa_uses_dynamic_stack 0
		.amdhsa_system_sgpr_private_segment_wavefront_offset 0
		.amdhsa_system_sgpr_workgroup_id_x 1
		.amdhsa_system_sgpr_workgroup_id_y 0
		.amdhsa_system_sgpr_workgroup_id_z 0
		.amdhsa_system_sgpr_workgroup_info 0
		.amdhsa_system_vgpr_workitem_id 0
		.amdhsa_next_free_vgpr 5
		.amdhsa_next_free_sgpr 7
		.amdhsa_accum_offset 8
		.amdhsa_reserve_vcc 0
		.amdhsa_reserve_flat_scratch 0
		.amdhsa_float_round_mode_32 0
		.amdhsa_float_round_mode_16_64 0
		.amdhsa_float_denorm_mode_32 3
		.amdhsa_float_denorm_mode_16_64 3
		.amdhsa_dx10_clamp 1
		.amdhsa_ieee_mode 1
		.amdhsa_fp16_overflow 0
		.amdhsa_tg_split 0
		.amdhsa_exception_fp_ieee_invalid_op 0
		.amdhsa_exception_fp_denorm_src 0
		.amdhsa_exception_fp_ieee_div_zero 0
		.amdhsa_exception_fp_ieee_overflow 0
		.amdhsa_exception_fp_ieee_underflow 0
		.amdhsa_exception_fp_ieee_inexact 0
		.amdhsa_exception_int_div_zero 0
	.end_amdhsa_kernel
	.section	.text._Z16operation_kernelIiLj256ELj4EL23memory_operation_method0E9operationIL16kernel_operation0EiLj4ELj256EEEvPT_S5_T3_,"axG",@progbits,_Z16operation_kernelIiLj256ELj4EL23memory_operation_method0E9operationIL16kernel_operation0EiLj4ELj256EEEvPT_S5_T3_,comdat
.Lfunc_end2:
	.size	_Z16operation_kernelIiLj256ELj4EL23memory_operation_method0E9operationIL16kernel_operation0EiLj4ELj256EEEvPT_S5_T3_, .Lfunc_end2-_Z16operation_kernelIiLj256ELj4EL23memory_operation_method0E9operationIL16kernel_operation0EiLj4ELj256EEEvPT_S5_T3_
                                        ; -- End function
	.section	.AMDGPU.csdata,"",@progbits
; Kernel info:
; codeLenInByte = 72
; NumSgprs: 11
; NumVgprs: 5
; NumAgprs: 0
; TotalNumVgprs: 5
; ScratchSize: 0
; MemoryBound: 0
; FloatMode: 240
; IeeeMode: 1
; LDSByteSize: 0 bytes/workgroup (compile time only)
; SGPRBlocks: 1
; VGPRBlocks: 0
; NumSGPRsForWavesPerEU: 11
; NumVGPRsForWavesPerEU: 5
; AccumOffset: 8
; Occupancy: 8
; WaveLimiterHint : 0
; COMPUTE_PGM_RSRC2:SCRATCH_EN: 0
; COMPUTE_PGM_RSRC2:USER_SGPR: 6
; COMPUTE_PGM_RSRC2:TRAP_HANDLER: 0
; COMPUTE_PGM_RSRC2:TGID_X_EN: 1
; COMPUTE_PGM_RSRC2:TGID_Y_EN: 0
; COMPUTE_PGM_RSRC2:TGID_Z_EN: 0
; COMPUTE_PGM_RSRC2:TIDIG_COMP_CNT: 0
; COMPUTE_PGM_RSRC3_GFX90A:ACCUM_OFFSET: 1
; COMPUTE_PGM_RSRC3_GFX90A:TG_SPLIT: 0
	.section	.text._Z16operation_kernelIiLj256ELj8EL23memory_operation_method0E9operationIL16kernel_operation0EiLj8ELj256EEEvPT_S5_T3_,"axG",@progbits,_Z16operation_kernelIiLj256ELj8EL23memory_operation_method0E9operationIL16kernel_operation0EiLj8ELj256EEEvPT_S5_T3_,comdat
	.protected	_Z16operation_kernelIiLj256ELj8EL23memory_operation_method0E9operationIL16kernel_operation0EiLj8ELj256EEEvPT_S5_T3_ ; -- Begin function _Z16operation_kernelIiLj256ELj8EL23memory_operation_method0E9operationIL16kernel_operation0EiLj8ELj256EEEvPT_S5_T3_
	.globl	_Z16operation_kernelIiLj256ELj8EL23memory_operation_method0E9operationIL16kernel_operation0EiLj8ELj256EEEvPT_S5_T3_
	.p2align	8
	.type	_Z16operation_kernelIiLj256ELj8EL23memory_operation_method0E9operationIL16kernel_operation0EiLj8ELj256EEEvPT_S5_T3_,@function
_Z16operation_kernelIiLj256ELj8EL23memory_operation_method0E9operationIL16kernel_operation0EiLj8ELj256EEEvPT_S5_T3_: ; @_Z16operation_kernelIiLj256ELj8EL23memory_operation_method0E9operationIL16kernel_operation0EiLj8ELj256EEEvPT_S5_T3_
; %bb.0:
	s_load_dwordx4 s[0:3], s[4:5], 0x0
	s_lshl_b32 s4, s6, 11
	s_mov_b32 s5, 0
	s_lshl_b64 s[4:5], s[4:5], 2
	v_lshlrev_b32_e32 v8, 5, v0
	s_waitcnt lgkmcnt(0)
	s_add_u32 s0, s0, s4
	s_addc_u32 s1, s1, s5
	global_load_dwordx4 v[0:3], v8, s[0:1]
	global_load_dwordx4 v[4:7], v8, s[0:1] offset:16
	s_add_u32 s0, s2, s4
	s_addc_u32 s1, s3, s5
	s_barrier
	s_waitcnt vmcnt(1)
	global_store_dwordx4 v8, v[0:3], s[0:1]
	s_waitcnt vmcnt(1)
	global_store_dwordx4 v8, v[4:7], s[0:1] offset:16
	s_endpgm
	.section	.rodata,"a",@progbits
	.p2align	6, 0x0
	.amdhsa_kernel _Z16operation_kernelIiLj256ELj8EL23memory_operation_method0E9operationIL16kernel_operation0EiLj8ELj256EEEvPT_S5_T3_
		.amdhsa_group_segment_fixed_size 0
		.amdhsa_private_segment_fixed_size 0
		.amdhsa_kernarg_size 20
		.amdhsa_user_sgpr_count 6
		.amdhsa_user_sgpr_private_segment_buffer 1
		.amdhsa_user_sgpr_dispatch_ptr 0
		.amdhsa_user_sgpr_queue_ptr 0
		.amdhsa_user_sgpr_kernarg_segment_ptr 1
		.amdhsa_user_sgpr_dispatch_id 0
		.amdhsa_user_sgpr_flat_scratch_init 0
		.amdhsa_user_sgpr_kernarg_preload_length 0
		.amdhsa_user_sgpr_kernarg_preload_offset 0
		.amdhsa_user_sgpr_private_segment_size 0
		.amdhsa_uses_dynamic_stack 0
		.amdhsa_system_sgpr_private_segment_wavefront_offset 0
		.amdhsa_system_sgpr_workgroup_id_x 1
		.amdhsa_system_sgpr_workgroup_id_y 0
		.amdhsa_system_sgpr_workgroup_id_z 0
		.amdhsa_system_sgpr_workgroup_info 0
		.amdhsa_system_vgpr_workitem_id 0
		.amdhsa_next_free_vgpr 9
		.amdhsa_next_free_sgpr 7
		.amdhsa_accum_offset 12
		.amdhsa_reserve_vcc 0
		.amdhsa_reserve_flat_scratch 0
		.amdhsa_float_round_mode_32 0
		.amdhsa_float_round_mode_16_64 0
		.amdhsa_float_denorm_mode_32 3
		.amdhsa_float_denorm_mode_16_64 3
		.amdhsa_dx10_clamp 1
		.amdhsa_ieee_mode 1
		.amdhsa_fp16_overflow 0
		.amdhsa_tg_split 0
		.amdhsa_exception_fp_ieee_invalid_op 0
		.amdhsa_exception_fp_denorm_src 0
		.amdhsa_exception_fp_ieee_div_zero 0
		.amdhsa_exception_fp_ieee_overflow 0
		.amdhsa_exception_fp_ieee_underflow 0
		.amdhsa_exception_fp_ieee_inexact 0
		.amdhsa_exception_int_div_zero 0
	.end_amdhsa_kernel
	.section	.text._Z16operation_kernelIiLj256ELj8EL23memory_operation_method0E9operationIL16kernel_operation0EiLj8ELj256EEEvPT_S5_T3_,"axG",@progbits,_Z16operation_kernelIiLj256ELj8EL23memory_operation_method0E9operationIL16kernel_operation0EiLj8ELj256EEEvPT_S5_T3_,comdat
.Lfunc_end3:
	.size	_Z16operation_kernelIiLj256ELj8EL23memory_operation_method0E9operationIL16kernel_operation0EiLj8ELj256EEEvPT_S5_T3_, .Lfunc_end3-_Z16operation_kernelIiLj256ELj8EL23memory_operation_method0E9operationIL16kernel_operation0EiLj8ELj256EEEvPT_S5_T3_
                                        ; -- End function
	.section	.AMDGPU.csdata,"",@progbits
; Kernel info:
; codeLenInByte = 92
; NumSgprs: 11
; NumVgprs: 9
; NumAgprs: 0
; TotalNumVgprs: 9
; ScratchSize: 0
; MemoryBound: 0
; FloatMode: 240
; IeeeMode: 1
; LDSByteSize: 0 bytes/workgroup (compile time only)
; SGPRBlocks: 1
; VGPRBlocks: 1
; NumSGPRsForWavesPerEU: 11
; NumVGPRsForWavesPerEU: 9
; AccumOffset: 12
; Occupancy: 8
; WaveLimiterHint : 0
; COMPUTE_PGM_RSRC2:SCRATCH_EN: 0
; COMPUTE_PGM_RSRC2:USER_SGPR: 6
; COMPUTE_PGM_RSRC2:TRAP_HANDLER: 0
; COMPUTE_PGM_RSRC2:TGID_X_EN: 1
; COMPUTE_PGM_RSRC2:TGID_Y_EN: 0
; COMPUTE_PGM_RSRC2:TGID_Z_EN: 0
; COMPUTE_PGM_RSRC2:TIDIG_COMP_CNT: 0
; COMPUTE_PGM_RSRC3_GFX90A:ACCUM_OFFSET: 2
; COMPUTE_PGM_RSRC3_GFX90A:TG_SPLIT: 0
	.section	.text._Z16operation_kernelIiLj256ELj1EL23memory_operation_method1E9operationIL16kernel_operation0EiLj1ELj256EEEvPT_S5_T3_,"axG",@progbits,_Z16operation_kernelIiLj256ELj1EL23memory_operation_method1E9operationIL16kernel_operation0EiLj1ELj256EEEvPT_S5_T3_,comdat
	.protected	_Z16operation_kernelIiLj256ELj1EL23memory_operation_method1E9operationIL16kernel_operation0EiLj1ELj256EEEvPT_S5_T3_ ; -- Begin function _Z16operation_kernelIiLj256ELj1EL23memory_operation_method1E9operationIL16kernel_operation0EiLj1ELj256EEEvPT_S5_T3_
	.globl	_Z16operation_kernelIiLj256ELj1EL23memory_operation_method1E9operationIL16kernel_operation0EiLj1ELj256EEEvPT_S5_T3_
	.p2align	8
	.type	_Z16operation_kernelIiLj256ELj1EL23memory_operation_method1E9operationIL16kernel_operation0EiLj1ELj256EEEvPT_S5_T3_,@function
_Z16operation_kernelIiLj256ELj1EL23memory_operation_method1E9operationIL16kernel_operation0EiLj1ELj256EEEvPT_S5_T3_: ; @_Z16operation_kernelIiLj256ELj1EL23memory_operation_method1E9operationIL16kernel_operation0EiLj1ELj256EEEvPT_S5_T3_
; %bb.0:
	s_load_dwordx4 s[0:3], s[4:5], 0x0
	s_lshl_b32 s4, s6, 8
	s_mov_b32 s5, 0
	s_lshl_b64 s[4:5], s[4:5], 2
	v_lshlrev_b32_e32 v0, 2, v0
	s_waitcnt lgkmcnt(0)
	s_add_u32 s0, s0, s4
	s_addc_u32 s1, s1, s5
	global_load_dword v1, v0, s[0:1]
	s_add_u32 s0, s2, s4
	s_addc_u32 s1, s3, s5
	s_barrier
	s_waitcnt vmcnt(0)
	global_store_dword v0, v1, s[0:1]
	s_endpgm
	.section	.rodata,"a",@progbits
	.p2align	6, 0x0
	.amdhsa_kernel _Z16operation_kernelIiLj256ELj1EL23memory_operation_method1E9operationIL16kernel_operation0EiLj1ELj256EEEvPT_S5_T3_
		.amdhsa_group_segment_fixed_size 0
		.amdhsa_private_segment_fixed_size 0
		.amdhsa_kernarg_size 20
		.amdhsa_user_sgpr_count 6
		.amdhsa_user_sgpr_private_segment_buffer 1
		.amdhsa_user_sgpr_dispatch_ptr 0
		.amdhsa_user_sgpr_queue_ptr 0
		.amdhsa_user_sgpr_kernarg_segment_ptr 1
		.amdhsa_user_sgpr_dispatch_id 0
		.amdhsa_user_sgpr_flat_scratch_init 0
		.amdhsa_user_sgpr_kernarg_preload_length 0
		.amdhsa_user_sgpr_kernarg_preload_offset 0
		.amdhsa_user_sgpr_private_segment_size 0
		.amdhsa_uses_dynamic_stack 0
		.amdhsa_system_sgpr_private_segment_wavefront_offset 0
		.amdhsa_system_sgpr_workgroup_id_x 1
		.amdhsa_system_sgpr_workgroup_id_y 0
		.amdhsa_system_sgpr_workgroup_id_z 0
		.amdhsa_system_sgpr_workgroup_info 0
		.amdhsa_system_vgpr_workitem_id 0
		.amdhsa_next_free_vgpr 2
		.amdhsa_next_free_sgpr 7
		.amdhsa_accum_offset 4
		.amdhsa_reserve_vcc 0
		.amdhsa_reserve_flat_scratch 0
		.amdhsa_float_round_mode_32 0
		.amdhsa_float_round_mode_16_64 0
		.amdhsa_float_denorm_mode_32 3
		.amdhsa_float_denorm_mode_16_64 3
		.amdhsa_dx10_clamp 1
		.amdhsa_ieee_mode 1
		.amdhsa_fp16_overflow 0
		.amdhsa_tg_split 0
		.amdhsa_exception_fp_ieee_invalid_op 0
		.amdhsa_exception_fp_denorm_src 0
		.amdhsa_exception_fp_ieee_div_zero 0
		.amdhsa_exception_fp_ieee_overflow 0
		.amdhsa_exception_fp_ieee_underflow 0
		.amdhsa_exception_fp_ieee_inexact 0
		.amdhsa_exception_int_div_zero 0
	.end_amdhsa_kernel
	.section	.text._Z16operation_kernelIiLj256ELj1EL23memory_operation_method1E9operationIL16kernel_operation0EiLj1ELj256EEEvPT_S5_T3_,"axG",@progbits,_Z16operation_kernelIiLj256ELj1EL23memory_operation_method1E9operationIL16kernel_operation0EiLj1ELj256EEEvPT_S5_T3_,comdat
.Lfunc_end4:
	.size	_Z16operation_kernelIiLj256ELj1EL23memory_operation_method1E9operationIL16kernel_operation0EiLj1ELj256EEEvPT_S5_T3_, .Lfunc_end4-_Z16operation_kernelIiLj256ELj1EL23memory_operation_method1E9operationIL16kernel_operation0EiLj1ELj256EEEvPT_S5_T3_
                                        ; -- End function
	.section	.AMDGPU.csdata,"",@progbits
; Kernel info:
; codeLenInByte = 72
; NumSgprs: 11
; NumVgprs: 2
; NumAgprs: 0
; TotalNumVgprs: 2
; ScratchSize: 0
; MemoryBound: 0
; FloatMode: 240
; IeeeMode: 1
; LDSByteSize: 0 bytes/workgroup (compile time only)
; SGPRBlocks: 1
; VGPRBlocks: 0
; NumSGPRsForWavesPerEU: 11
; NumVGPRsForWavesPerEU: 2
; AccumOffset: 4
; Occupancy: 8
; WaveLimiterHint : 0
; COMPUTE_PGM_RSRC2:SCRATCH_EN: 0
; COMPUTE_PGM_RSRC2:USER_SGPR: 6
; COMPUTE_PGM_RSRC2:TRAP_HANDLER: 0
; COMPUTE_PGM_RSRC2:TGID_X_EN: 1
; COMPUTE_PGM_RSRC2:TGID_Y_EN: 0
; COMPUTE_PGM_RSRC2:TGID_Z_EN: 0
; COMPUTE_PGM_RSRC2:TIDIG_COMP_CNT: 0
; COMPUTE_PGM_RSRC3_GFX90A:ACCUM_OFFSET: 0
; COMPUTE_PGM_RSRC3_GFX90A:TG_SPLIT: 0
	.section	.text._Z16operation_kernelIiLj256ELj2EL23memory_operation_method1E9operationIL16kernel_operation0EiLj2ELj256EEEvPT_S5_T3_,"axG",@progbits,_Z16operation_kernelIiLj256ELj2EL23memory_operation_method1E9operationIL16kernel_operation0EiLj2ELj256EEEvPT_S5_T3_,comdat
	.protected	_Z16operation_kernelIiLj256ELj2EL23memory_operation_method1E9operationIL16kernel_operation0EiLj2ELj256EEEvPT_S5_T3_ ; -- Begin function _Z16operation_kernelIiLj256ELj2EL23memory_operation_method1E9operationIL16kernel_operation0EiLj2ELj256EEEvPT_S5_T3_
	.globl	_Z16operation_kernelIiLj256ELj2EL23memory_operation_method1E9operationIL16kernel_operation0EiLj2ELj256EEEvPT_S5_T3_
	.p2align	8
	.type	_Z16operation_kernelIiLj256ELj2EL23memory_operation_method1E9operationIL16kernel_operation0EiLj2ELj256EEEvPT_S5_T3_,@function
_Z16operation_kernelIiLj256ELj2EL23memory_operation_method1E9operationIL16kernel_operation0EiLj2ELj256EEEvPT_S5_T3_: ; @_Z16operation_kernelIiLj256ELj2EL23memory_operation_method1E9operationIL16kernel_operation0EiLj2ELj256EEEvPT_S5_T3_
; %bb.0:
	s_load_dwordx4 s[0:3], s[4:5], 0x0
	s_lshl_b32 s4, s6, 9
	s_mov_b32 s5, 0
	s_lshl_b64 s[4:5], s[4:5], 2
	v_lshlrev_b32_e32 v0, 2, v0
	s_waitcnt lgkmcnt(0)
	s_add_u32 s0, s0, s4
	s_addc_u32 s1, s1, s5
	global_load_dword v1, v0, s[0:1]
	global_load_dword v2, v0, s[0:1] offset:1024
	s_add_u32 s0, s2, s4
	s_addc_u32 s1, s3, s5
	s_barrier
	s_waitcnt vmcnt(1)
	global_store_dword v0, v1, s[0:1]
	s_waitcnt vmcnt(1)
	global_store_dword v0, v2, s[0:1] offset:1024
	s_endpgm
	.section	.rodata,"a",@progbits
	.p2align	6, 0x0
	.amdhsa_kernel _Z16operation_kernelIiLj256ELj2EL23memory_operation_method1E9operationIL16kernel_operation0EiLj2ELj256EEEvPT_S5_T3_
		.amdhsa_group_segment_fixed_size 0
		.amdhsa_private_segment_fixed_size 0
		.amdhsa_kernarg_size 20
		.amdhsa_user_sgpr_count 6
		.amdhsa_user_sgpr_private_segment_buffer 1
		.amdhsa_user_sgpr_dispatch_ptr 0
		.amdhsa_user_sgpr_queue_ptr 0
		.amdhsa_user_sgpr_kernarg_segment_ptr 1
		.amdhsa_user_sgpr_dispatch_id 0
		.amdhsa_user_sgpr_flat_scratch_init 0
		.amdhsa_user_sgpr_kernarg_preload_length 0
		.amdhsa_user_sgpr_kernarg_preload_offset 0
		.amdhsa_user_sgpr_private_segment_size 0
		.amdhsa_uses_dynamic_stack 0
		.amdhsa_system_sgpr_private_segment_wavefront_offset 0
		.amdhsa_system_sgpr_workgroup_id_x 1
		.amdhsa_system_sgpr_workgroup_id_y 0
		.amdhsa_system_sgpr_workgroup_id_z 0
		.amdhsa_system_sgpr_workgroup_info 0
		.amdhsa_system_vgpr_workitem_id 0
		.amdhsa_next_free_vgpr 3
		.amdhsa_next_free_sgpr 7
		.amdhsa_accum_offset 4
		.amdhsa_reserve_vcc 0
		.amdhsa_reserve_flat_scratch 0
		.amdhsa_float_round_mode_32 0
		.amdhsa_float_round_mode_16_64 0
		.amdhsa_float_denorm_mode_32 3
		.amdhsa_float_denorm_mode_16_64 3
		.amdhsa_dx10_clamp 1
		.amdhsa_ieee_mode 1
		.amdhsa_fp16_overflow 0
		.amdhsa_tg_split 0
		.amdhsa_exception_fp_ieee_invalid_op 0
		.amdhsa_exception_fp_denorm_src 0
		.amdhsa_exception_fp_ieee_div_zero 0
		.amdhsa_exception_fp_ieee_overflow 0
		.amdhsa_exception_fp_ieee_underflow 0
		.amdhsa_exception_fp_ieee_inexact 0
		.amdhsa_exception_int_div_zero 0
	.end_amdhsa_kernel
	.section	.text._Z16operation_kernelIiLj256ELj2EL23memory_operation_method1E9operationIL16kernel_operation0EiLj2ELj256EEEvPT_S5_T3_,"axG",@progbits,_Z16operation_kernelIiLj256ELj2EL23memory_operation_method1E9operationIL16kernel_operation0EiLj2ELj256EEEvPT_S5_T3_,comdat
.Lfunc_end5:
	.size	_Z16operation_kernelIiLj256ELj2EL23memory_operation_method1E9operationIL16kernel_operation0EiLj2ELj256EEEvPT_S5_T3_, .Lfunc_end5-_Z16operation_kernelIiLj256ELj2EL23memory_operation_method1E9operationIL16kernel_operation0EiLj2ELj256EEEvPT_S5_T3_
                                        ; -- End function
	.section	.AMDGPU.csdata,"",@progbits
; Kernel info:
; codeLenInByte = 92
; NumSgprs: 11
; NumVgprs: 3
; NumAgprs: 0
; TotalNumVgprs: 3
; ScratchSize: 0
; MemoryBound: 0
; FloatMode: 240
; IeeeMode: 1
; LDSByteSize: 0 bytes/workgroup (compile time only)
; SGPRBlocks: 1
; VGPRBlocks: 0
; NumSGPRsForWavesPerEU: 11
; NumVGPRsForWavesPerEU: 3
; AccumOffset: 4
; Occupancy: 8
; WaveLimiterHint : 1
; COMPUTE_PGM_RSRC2:SCRATCH_EN: 0
; COMPUTE_PGM_RSRC2:USER_SGPR: 6
; COMPUTE_PGM_RSRC2:TRAP_HANDLER: 0
; COMPUTE_PGM_RSRC2:TGID_X_EN: 1
; COMPUTE_PGM_RSRC2:TGID_Y_EN: 0
; COMPUTE_PGM_RSRC2:TGID_Z_EN: 0
; COMPUTE_PGM_RSRC2:TIDIG_COMP_CNT: 0
; COMPUTE_PGM_RSRC3_GFX90A:ACCUM_OFFSET: 0
; COMPUTE_PGM_RSRC3_GFX90A:TG_SPLIT: 0
	.section	.text._Z16operation_kernelIiLj256ELj4EL23memory_operation_method1E9operationIL16kernel_operation0EiLj4ELj256EEEvPT_S5_T3_,"axG",@progbits,_Z16operation_kernelIiLj256ELj4EL23memory_operation_method1E9operationIL16kernel_operation0EiLj4ELj256EEEvPT_S5_T3_,comdat
	.protected	_Z16operation_kernelIiLj256ELj4EL23memory_operation_method1E9operationIL16kernel_operation0EiLj4ELj256EEEvPT_S5_T3_ ; -- Begin function _Z16operation_kernelIiLj256ELj4EL23memory_operation_method1E9operationIL16kernel_operation0EiLj4ELj256EEEvPT_S5_T3_
	.globl	_Z16operation_kernelIiLj256ELj4EL23memory_operation_method1E9operationIL16kernel_operation0EiLj4ELj256EEEvPT_S5_T3_
	.p2align	8
	.type	_Z16operation_kernelIiLj256ELj4EL23memory_operation_method1E9operationIL16kernel_operation0EiLj4ELj256EEEvPT_S5_T3_,@function
_Z16operation_kernelIiLj256ELj4EL23memory_operation_method1E9operationIL16kernel_operation0EiLj4ELj256EEEvPT_S5_T3_: ; @_Z16operation_kernelIiLj256ELj4EL23memory_operation_method1E9operationIL16kernel_operation0EiLj4ELj256EEEvPT_S5_T3_
; %bb.0:
	s_load_dwordx4 s[0:3], s[4:5], 0x0
	s_lshl_b32 s4, s6, 10
	s_mov_b32 s5, 0
	s_lshl_b64 s[4:5], s[4:5], 2
	v_lshlrev_b32_e32 v0, 2, v0
	s_waitcnt lgkmcnt(0)
	s_add_u32 s0, s0, s4
	s_addc_u32 s1, s1, s5
	global_load_dword v1, v0, s[0:1]
	global_load_dword v2, v0, s[0:1] offset:1024
	global_load_dword v3, v0, s[0:1] offset:2048
	;; [unrolled: 1-line block ×3, first 2 shown]
	s_add_u32 s0, s2, s4
	s_addc_u32 s1, s3, s5
	s_barrier
	s_waitcnt vmcnt(3)
	global_store_dword v0, v1, s[0:1]
	s_waitcnt vmcnt(3)
	global_store_dword v0, v2, s[0:1] offset:1024
	s_waitcnt vmcnt(3)
	global_store_dword v0, v3, s[0:1] offset:2048
	;; [unrolled: 2-line block ×3, first 2 shown]
	s_endpgm
	.section	.rodata,"a",@progbits
	.p2align	6, 0x0
	.amdhsa_kernel _Z16operation_kernelIiLj256ELj4EL23memory_operation_method1E9operationIL16kernel_operation0EiLj4ELj256EEEvPT_S5_T3_
		.amdhsa_group_segment_fixed_size 0
		.amdhsa_private_segment_fixed_size 0
		.amdhsa_kernarg_size 20
		.amdhsa_user_sgpr_count 6
		.amdhsa_user_sgpr_private_segment_buffer 1
		.amdhsa_user_sgpr_dispatch_ptr 0
		.amdhsa_user_sgpr_queue_ptr 0
		.amdhsa_user_sgpr_kernarg_segment_ptr 1
		.amdhsa_user_sgpr_dispatch_id 0
		.amdhsa_user_sgpr_flat_scratch_init 0
		.amdhsa_user_sgpr_kernarg_preload_length 0
		.amdhsa_user_sgpr_kernarg_preload_offset 0
		.amdhsa_user_sgpr_private_segment_size 0
		.amdhsa_uses_dynamic_stack 0
		.amdhsa_system_sgpr_private_segment_wavefront_offset 0
		.amdhsa_system_sgpr_workgroup_id_x 1
		.amdhsa_system_sgpr_workgroup_id_y 0
		.amdhsa_system_sgpr_workgroup_id_z 0
		.amdhsa_system_sgpr_workgroup_info 0
		.amdhsa_system_vgpr_workitem_id 0
		.amdhsa_next_free_vgpr 5
		.amdhsa_next_free_sgpr 7
		.amdhsa_accum_offset 8
		.amdhsa_reserve_vcc 0
		.amdhsa_reserve_flat_scratch 0
		.amdhsa_float_round_mode_32 0
		.amdhsa_float_round_mode_16_64 0
		.amdhsa_float_denorm_mode_32 3
		.amdhsa_float_denorm_mode_16_64 3
		.amdhsa_dx10_clamp 1
		.amdhsa_ieee_mode 1
		.amdhsa_fp16_overflow 0
		.amdhsa_tg_split 0
		.amdhsa_exception_fp_ieee_invalid_op 0
		.amdhsa_exception_fp_denorm_src 0
		.amdhsa_exception_fp_ieee_div_zero 0
		.amdhsa_exception_fp_ieee_overflow 0
		.amdhsa_exception_fp_ieee_underflow 0
		.amdhsa_exception_fp_ieee_inexact 0
		.amdhsa_exception_int_div_zero 0
	.end_amdhsa_kernel
	.section	.text._Z16operation_kernelIiLj256ELj4EL23memory_operation_method1E9operationIL16kernel_operation0EiLj4ELj256EEEvPT_S5_T3_,"axG",@progbits,_Z16operation_kernelIiLj256ELj4EL23memory_operation_method1E9operationIL16kernel_operation0EiLj4ELj256EEEvPT_S5_T3_,comdat
.Lfunc_end6:
	.size	_Z16operation_kernelIiLj256ELj4EL23memory_operation_method1E9operationIL16kernel_operation0EiLj4ELj256EEEvPT_S5_T3_, .Lfunc_end6-_Z16operation_kernelIiLj256ELj4EL23memory_operation_method1E9operationIL16kernel_operation0EiLj4ELj256EEEvPT_S5_T3_
                                        ; -- End function
	.section	.AMDGPU.csdata,"",@progbits
; Kernel info:
; codeLenInByte = 132
; NumSgprs: 11
; NumVgprs: 5
; NumAgprs: 0
; TotalNumVgprs: 5
; ScratchSize: 0
; MemoryBound: 0
; FloatMode: 240
; IeeeMode: 1
; LDSByteSize: 0 bytes/workgroup (compile time only)
; SGPRBlocks: 1
; VGPRBlocks: 0
; NumSGPRsForWavesPerEU: 11
; NumVGPRsForWavesPerEU: 5
; AccumOffset: 8
; Occupancy: 8
; WaveLimiterHint : 1
; COMPUTE_PGM_RSRC2:SCRATCH_EN: 0
; COMPUTE_PGM_RSRC2:USER_SGPR: 6
; COMPUTE_PGM_RSRC2:TRAP_HANDLER: 0
; COMPUTE_PGM_RSRC2:TGID_X_EN: 1
; COMPUTE_PGM_RSRC2:TGID_Y_EN: 0
; COMPUTE_PGM_RSRC2:TGID_Z_EN: 0
; COMPUTE_PGM_RSRC2:TIDIG_COMP_CNT: 0
; COMPUTE_PGM_RSRC3_GFX90A:ACCUM_OFFSET: 1
; COMPUTE_PGM_RSRC3_GFX90A:TG_SPLIT: 0
	.section	.text._Z16operation_kernelIiLj256ELj8EL23memory_operation_method1E9operationIL16kernel_operation0EiLj8ELj256EEEvPT_S5_T3_,"axG",@progbits,_Z16operation_kernelIiLj256ELj8EL23memory_operation_method1E9operationIL16kernel_operation0EiLj8ELj256EEEvPT_S5_T3_,comdat
	.protected	_Z16operation_kernelIiLj256ELj8EL23memory_operation_method1E9operationIL16kernel_operation0EiLj8ELj256EEEvPT_S5_T3_ ; -- Begin function _Z16operation_kernelIiLj256ELj8EL23memory_operation_method1E9operationIL16kernel_operation0EiLj8ELj256EEEvPT_S5_T3_
	.globl	_Z16operation_kernelIiLj256ELj8EL23memory_operation_method1E9operationIL16kernel_operation0EiLj8ELj256EEEvPT_S5_T3_
	.p2align	8
	.type	_Z16operation_kernelIiLj256ELj8EL23memory_operation_method1E9operationIL16kernel_operation0EiLj8ELj256EEEvPT_S5_T3_,@function
_Z16operation_kernelIiLj256ELj8EL23memory_operation_method1E9operationIL16kernel_operation0EiLj8ELj256EEEvPT_S5_T3_: ; @_Z16operation_kernelIiLj256ELj8EL23memory_operation_method1E9operationIL16kernel_operation0EiLj8ELj256EEEvPT_S5_T3_
; %bb.0:
	s_load_dwordx4 s[0:3], s[4:5], 0x0
	s_lshl_b32 s4, s6, 11
	s_mov_b32 s5, 0
	s_lshl_b64 s[4:5], s[4:5], 2
	v_lshlrev_b32_e32 v2, 2, v0
	s_waitcnt lgkmcnt(0)
	s_add_u32 s0, s0, s4
	s_addc_u32 s1, s1, s5
	v_mov_b32_e32 v0, s1
	v_add_co_u32_e32 v1, vcc, s0, v2
	v_addc_co_u32_e32 v3, vcc, 0, v0, vcc
	s_movk_i32 s6, 0x1000
	v_add_co_u32_e32 v0, vcc, s6, v1
	v_addc_co_u32_e32 v1, vcc, 0, v3, vcc
	global_load_dword v3, v2, s[0:1]
	global_load_dword v4, v2, s[0:1] offset:1024
	global_load_dword v5, v2, s[0:1] offset:2048
	;; [unrolled: 1-line block ×3, first 2 shown]
	global_load_dword v7, v[0:1], off
	global_load_dword v8, v[0:1], off offset:1024
	global_load_dword v9, v[0:1], off offset:2048
	;; [unrolled: 1-line block ×3, first 2 shown]
	s_add_u32 s0, s2, s4
	s_addc_u32 s1, s3, s5
	v_mov_b32_e32 v0, s1
	v_add_co_u32_e32 v1, vcc, s0, v2
	v_addc_co_u32_e32 v11, vcc, 0, v0, vcc
	v_add_co_u32_e32 v0, vcc, 0x1000, v1
	s_barrier
	v_addc_co_u32_e32 v1, vcc, 0, v11, vcc
	s_waitcnt vmcnt(7)
	global_store_dword v2, v3, s[0:1]
	s_waitcnt vmcnt(7)
	global_store_dword v2, v4, s[0:1] offset:1024
	s_waitcnt vmcnt(7)
	global_store_dword v2, v5, s[0:1] offset:2048
	;; [unrolled: 2-line block ×3, first 2 shown]
	s_waitcnt vmcnt(7)
	global_store_dword v[0:1], v7, off
	s_waitcnt vmcnt(7)
	global_store_dword v[0:1], v8, off offset:1024
	s_waitcnt vmcnt(7)
	global_store_dword v[0:1], v9, off offset:2048
	;; [unrolled: 2-line block ×3, first 2 shown]
	s_endpgm
	.section	.rodata,"a",@progbits
	.p2align	6, 0x0
	.amdhsa_kernel _Z16operation_kernelIiLj256ELj8EL23memory_operation_method1E9operationIL16kernel_operation0EiLj8ELj256EEEvPT_S5_T3_
		.amdhsa_group_segment_fixed_size 0
		.amdhsa_private_segment_fixed_size 0
		.amdhsa_kernarg_size 20
		.amdhsa_user_sgpr_count 6
		.amdhsa_user_sgpr_private_segment_buffer 1
		.amdhsa_user_sgpr_dispatch_ptr 0
		.amdhsa_user_sgpr_queue_ptr 0
		.amdhsa_user_sgpr_kernarg_segment_ptr 1
		.amdhsa_user_sgpr_dispatch_id 0
		.amdhsa_user_sgpr_flat_scratch_init 0
		.amdhsa_user_sgpr_kernarg_preload_length 0
		.amdhsa_user_sgpr_kernarg_preload_offset 0
		.amdhsa_user_sgpr_private_segment_size 0
		.amdhsa_uses_dynamic_stack 0
		.amdhsa_system_sgpr_private_segment_wavefront_offset 0
		.amdhsa_system_sgpr_workgroup_id_x 1
		.amdhsa_system_sgpr_workgroup_id_y 0
		.amdhsa_system_sgpr_workgroup_id_z 0
		.amdhsa_system_sgpr_workgroup_info 0
		.amdhsa_system_vgpr_workitem_id 0
		.amdhsa_next_free_vgpr 12
		.amdhsa_next_free_sgpr 7
		.amdhsa_accum_offset 12
		.amdhsa_reserve_vcc 1
		.amdhsa_reserve_flat_scratch 0
		.amdhsa_float_round_mode_32 0
		.amdhsa_float_round_mode_16_64 0
		.amdhsa_float_denorm_mode_32 3
		.amdhsa_float_denorm_mode_16_64 3
		.amdhsa_dx10_clamp 1
		.amdhsa_ieee_mode 1
		.amdhsa_fp16_overflow 0
		.amdhsa_tg_split 0
		.amdhsa_exception_fp_ieee_invalid_op 0
		.amdhsa_exception_fp_denorm_src 0
		.amdhsa_exception_fp_ieee_div_zero 0
		.amdhsa_exception_fp_ieee_overflow 0
		.amdhsa_exception_fp_ieee_underflow 0
		.amdhsa_exception_fp_ieee_inexact 0
		.amdhsa_exception_int_div_zero 0
	.end_amdhsa_kernel
	.section	.text._Z16operation_kernelIiLj256ELj8EL23memory_operation_method1E9operationIL16kernel_operation0EiLj8ELj256EEEvPT_S5_T3_,"axG",@progbits,_Z16operation_kernelIiLj256ELj8EL23memory_operation_method1E9operationIL16kernel_operation0EiLj8ELj256EEEvPT_S5_T3_,comdat
.Lfunc_end7:
	.size	_Z16operation_kernelIiLj256ELj8EL23memory_operation_method1E9operationIL16kernel_operation0EiLj8ELj256EEEvPT_S5_T3_, .Lfunc_end7-_Z16operation_kernelIiLj256ELj8EL23memory_operation_method1E9operationIL16kernel_operation0EiLj8ELj256EEEvPT_S5_T3_
                                        ; -- End function
	.section	.AMDGPU.csdata,"",@progbits
; Kernel info:
; codeLenInByte = 260
; NumSgprs: 11
; NumVgprs: 12
; NumAgprs: 0
; TotalNumVgprs: 12
; ScratchSize: 0
; MemoryBound: 0
; FloatMode: 240
; IeeeMode: 1
; LDSByteSize: 0 bytes/workgroup (compile time only)
; SGPRBlocks: 1
; VGPRBlocks: 1
; NumSGPRsForWavesPerEU: 11
; NumVGPRsForWavesPerEU: 12
; AccumOffset: 12
; Occupancy: 8
; WaveLimiterHint : 1
; COMPUTE_PGM_RSRC2:SCRATCH_EN: 0
; COMPUTE_PGM_RSRC2:USER_SGPR: 6
; COMPUTE_PGM_RSRC2:TRAP_HANDLER: 0
; COMPUTE_PGM_RSRC2:TGID_X_EN: 1
; COMPUTE_PGM_RSRC2:TGID_Y_EN: 0
; COMPUTE_PGM_RSRC2:TGID_Z_EN: 0
; COMPUTE_PGM_RSRC2:TIDIG_COMP_CNT: 0
; COMPUTE_PGM_RSRC3_GFX90A:ACCUM_OFFSET: 2
; COMPUTE_PGM_RSRC3_GFX90A:TG_SPLIT: 0
	.section	.text._Z16operation_kernelIiLj256ELj1EL23memory_operation_method2E9operationIL16kernel_operation0EiLj1ELj256EEEvPT_S5_T3_,"axG",@progbits,_Z16operation_kernelIiLj256ELj1EL23memory_operation_method2E9operationIL16kernel_operation0EiLj1ELj256EEEvPT_S5_T3_,comdat
	.protected	_Z16operation_kernelIiLj256ELj1EL23memory_operation_method2E9operationIL16kernel_operation0EiLj1ELj256EEEvPT_S5_T3_ ; -- Begin function _Z16operation_kernelIiLj256ELj1EL23memory_operation_method2E9operationIL16kernel_operation0EiLj1ELj256EEEvPT_S5_T3_
	.globl	_Z16operation_kernelIiLj256ELj1EL23memory_operation_method2E9operationIL16kernel_operation0EiLj1ELj256EEEvPT_S5_T3_
	.p2align	8
	.type	_Z16operation_kernelIiLj256ELj1EL23memory_operation_method2E9operationIL16kernel_operation0EiLj1ELj256EEEvPT_S5_T3_,@function
_Z16operation_kernelIiLj256ELj1EL23memory_operation_method2E9operationIL16kernel_operation0EiLj1ELj256EEEvPT_S5_T3_: ; @_Z16operation_kernelIiLj256ELj1EL23memory_operation_method2E9operationIL16kernel_operation0EiLj1ELj256EEEvPT_S5_T3_
; %bb.0:
	s_load_dwordx4 s[0:3], s[4:5], 0x0
	s_lshl_b32 s4, s6, 8
	s_mov_b32 s5, 0
	s_lshl_b64 s[4:5], s[4:5], 2
	v_lshlrev_b32_e32 v0, 2, v0
	s_waitcnt lgkmcnt(0)
	s_add_u32 s0, s0, s4
	s_addc_u32 s1, s1, s5
	global_load_dword v1, v0, s[0:1]
	s_add_u32 s0, s2, s4
	s_addc_u32 s1, s3, s5
	s_barrier
	s_waitcnt vmcnt(0)
	global_store_dword v0, v1, s[0:1]
	s_endpgm
	.section	.rodata,"a",@progbits
	.p2align	6, 0x0
	.amdhsa_kernel _Z16operation_kernelIiLj256ELj1EL23memory_operation_method2E9operationIL16kernel_operation0EiLj1ELj256EEEvPT_S5_T3_
		.amdhsa_group_segment_fixed_size 0
		.amdhsa_private_segment_fixed_size 0
		.amdhsa_kernarg_size 20
		.amdhsa_user_sgpr_count 6
		.amdhsa_user_sgpr_private_segment_buffer 1
		.amdhsa_user_sgpr_dispatch_ptr 0
		.amdhsa_user_sgpr_queue_ptr 0
		.amdhsa_user_sgpr_kernarg_segment_ptr 1
		.amdhsa_user_sgpr_dispatch_id 0
		.amdhsa_user_sgpr_flat_scratch_init 0
		.amdhsa_user_sgpr_kernarg_preload_length 0
		.amdhsa_user_sgpr_kernarg_preload_offset 0
		.amdhsa_user_sgpr_private_segment_size 0
		.amdhsa_uses_dynamic_stack 0
		.amdhsa_system_sgpr_private_segment_wavefront_offset 0
		.amdhsa_system_sgpr_workgroup_id_x 1
		.amdhsa_system_sgpr_workgroup_id_y 0
		.amdhsa_system_sgpr_workgroup_id_z 0
		.amdhsa_system_sgpr_workgroup_info 0
		.amdhsa_system_vgpr_workitem_id 0
		.amdhsa_next_free_vgpr 2
		.amdhsa_next_free_sgpr 7
		.amdhsa_accum_offset 4
		.amdhsa_reserve_vcc 0
		.amdhsa_reserve_flat_scratch 0
		.amdhsa_float_round_mode_32 0
		.amdhsa_float_round_mode_16_64 0
		.amdhsa_float_denorm_mode_32 3
		.amdhsa_float_denorm_mode_16_64 3
		.amdhsa_dx10_clamp 1
		.amdhsa_ieee_mode 1
		.amdhsa_fp16_overflow 0
		.amdhsa_tg_split 0
		.amdhsa_exception_fp_ieee_invalid_op 0
		.amdhsa_exception_fp_denorm_src 0
		.amdhsa_exception_fp_ieee_div_zero 0
		.amdhsa_exception_fp_ieee_overflow 0
		.amdhsa_exception_fp_ieee_underflow 0
		.amdhsa_exception_fp_ieee_inexact 0
		.amdhsa_exception_int_div_zero 0
	.end_amdhsa_kernel
	.section	.text._Z16operation_kernelIiLj256ELj1EL23memory_operation_method2E9operationIL16kernel_operation0EiLj1ELj256EEEvPT_S5_T3_,"axG",@progbits,_Z16operation_kernelIiLj256ELj1EL23memory_operation_method2E9operationIL16kernel_operation0EiLj1ELj256EEEvPT_S5_T3_,comdat
.Lfunc_end8:
	.size	_Z16operation_kernelIiLj256ELj1EL23memory_operation_method2E9operationIL16kernel_operation0EiLj1ELj256EEEvPT_S5_T3_, .Lfunc_end8-_Z16operation_kernelIiLj256ELj1EL23memory_operation_method2E9operationIL16kernel_operation0EiLj1ELj256EEEvPT_S5_T3_
                                        ; -- End function
	.section	.AMDGPU.csdata,"",@progbits
; Kernel info:
; codeLenInByte = 72
; NumSgprs: 11
; NumVgprs: 2
; NumAgprs: 0
; TotalNumVgprs: 2
; ScratchSize: 0
; MemoryBound: 0
; FloatMode: 240
; IeeeMode: 1
; LDSByteSize: 0 bytes/workgroup (compile time only)
; SGPRBlocks: 1
; VGPRBlocks: 0
; NumSGPRsForWavesPerEU: 11
; NumVGPRsForWavesPerEU: 2
; AccumOffset: 4
; Occupancy: 8
; WaveLimiterHint : 0
; COMPUTE_PGM_RSRC2:SCRATCH_EN: 0
; COMPUTE_PGM_RSRC2:USER_SGPR: 6
; COMPUTE_PGM_RSRC2:TRAP_HANDLER: 0
; COMPUTE_PGM_RSRC2:TGID_X_EN: 1
; COMPUTE_PGM_RSRC2:TGID_Y_EN: 0
; COMPUTE_PGM_RSRC2:TGID_Z_EN: 0
; COMPUTE_PGM_RSRC2:TIDIG_COMP_CNT: 0
; COMPUTE_PGM_RSRC3_GFX90A:ACCUM_OFFSET: 0
; COMPUTE_PGM_RSRC3_GFX90A:TG_SPLIT: 0
	.section	.text._Z16operation_kernelIiLj256ELj2EL23memory_operation_method2E9operationIL16kernel_operation0EiLj2ELj256EEEvPT_S5_T3_,"axG",@progbits,_Z16operation_kernelIiLj256ELj2EL23memory_operation_method2E9operationIL16kernel_operation0EiLj2ELj256EEEvPT_S5_T3_,comdat
	.protected	_Z16operation_kernelIiLj256ELj2EL23memory_operation_method2E9operationIL16kernel_operation0EiLj2ELj256EEEvPT_S5_T3_ ; -- Begin function _Z16operation_kernelIiLj256ELj2EL23memory_operation_method2E9operationIL16kernel_operation0EiLj2ELj256EEEvPT_S5_T3_
	.globl	_Z16operation_kernelIiLj256ELj2EL23memory_operation_method2E9operationIL16kernel_operation0EiLj2ELj256EEEvPT_S5_T3_
	.p2align	8
	.type	_Z16operation_kernelIiLj256ELj2EL23memory_operation_method2E9operationIL16kernel_operation0EiLj2ELj256EEEvPT_S5_T3_,@function
_Z16operation_kernelIiLj256ELj2EL23memory_operation_method2E9operationIL16kernel_operation0EiLj2ELj256EEEvPT_S5_T3_: ; @_Z16operation_kernelIiLj256ELj2EL23memory_operation_method2E9operationIL16kernel_operation0EiLj2ELj256EEEvPT_S5_T3_
; %bb.0:
	s_load_dwordx4 s[0:3], s[4:5], 0x0
	s_lshl_b32 s4, s6, 9
	s_mov_b32 s5, 0
	s_lshl_b64 s[4:5], s[4:5], 2
	v_lshlrev_b32_e32 v2, 3, v0
	s_waitcnt lgkmcnt(0)
	s_add_u32 s0, s0, s4
	s_addc_u32 s1, s1, s5
	global_load_dwordx2 v[0:1], v2, s[0:1]
	s_add_u32 s0, s2, s4
	s_addc_u32 s1, s3, s5
	s_barrier
	s_waitcnt vmcnt(0)
	global_store_dwordx2 v2, v[0:1], s[0:1]
	s_endpgm
	.section	.rodata,"a",@progbits
	.p2align	6, 0x0
	.amdhsa_kernel _Z16operation_kernelIiLj256ELj2EL23memory_operation_method2E9operationIL16kernel_operation0EiLj2ELj256EEEvPT_S5_T3_
		.amdhsa_group_segment_fixed_size 0
		.amdhsa_private_segment_fixed_size 0
		.amdhsa_kernarg_size 20
		.amdhsa_user_sgpr_count 6
		.amdhsa_user_sgpr_private_segment_buffer 1
		.amdhsa_user_sgpr_dispatch_ptr 0
		.amdhsa_user_sgpr_queue_ptr 0
		.amdhsa_user_sgpr_kernarg_segment_ptr 1
		.amdhsa_user_sgpr_dispatch_id 0
		.amdhsa_user_sgpr_flat_scratch_init 0
		.amdhsa_user_sgpr_kernarg_preload_length 0
		.amdhsa_user_sgpr_kernarg_preload_offset 0
		.amdhsa_user_sgpr_private_segment_size 0
		.amdhsa_uses_dynamic_stack 0
		.amdhsa_system_sgpr_private_segment_wavefront_offset 0
		.amdhsa_system_sgpr_workgroup_id_x 1
		.amdhsa_system_sgpr_workgroup_id_y 0
		.amdhsa_system_sgpr_workgroup_id_z 0
		.amdhsa_system_sgpr_workgroup_info 0
		.amdhsa_system_vgpr_workitem_id 0
		.amdhsa_next_free_vgpr 3
		.amdhsa_next_free_sgpr 7
		.amdhsa_accum_offset 4
		.amdhsa_reserve_vcc 0
		.amdhsa_reserve_flat_scratch 0
		.amdhsa_float_round_mode_32 0
		.amdhsa_float_round_mode_16_64 0
		.amdhsa_float_denorm_mode_32 3
		.amdhsa_float_denorm_mode_16_64 3
		.amdhsa_dx10_clamp 1
		.amdhsa_ieee_mode 1
		.amdhsa_fp16_overflow 0
		.amdhsa_tg_split 0
		.amdhsa_exception_fp_ieee_invalid_op 0
		.amdhsa_exception_fp_denorm_src 0
		.amdhsa_exception_fp_ieee_div_zero 0
		.amdhsa_exception_fp_ieee_overflow 0
		.amdhsa_exception_fp_ieee_underflow 0
		.amdhsa_exception_fp_ieee_inexact 0
		.amdhsa_exception_int_div_zero 0
	.end_amdhsa_kernel
	.section	.text._Z16operation_kernelIiLj256ELj2EL23memory_operation_method2E9operationIL16kernel_operation0EiLj2ELj256EEEvPT_S5_T3_,"axG",@progbits,_Z16operation_kernelIiLj256ELj2EL23memory_operation_method2E9operationIL16kernel_operation0EiLj2ELj256EEEvPT_S5_T3_,comdat
.Lfunc_end9:
	.size	_Z16operation_kernelIiLj256ELj2EL23memory_operation_method2E9operationIL16kernel_operation0EiLj2ELj256EEEvPT_S5_T3_, .Lfunc_end9-_Z16operation_kernelIiLj256ELj2EL23memory_operation_method2E9operationIL16kernel_operation0EiLj2ELj256EEEvPT_S5_T3_
                                        ; -- End function
	.section	.AMDGPU.csdata,"",@progbits
; Kernel info:
; codeLenInByte = 72
; NumSgprs: 11
; NumVgprs: 3
; NumAgprs: 0
; TotalNumVgprs: 3
; ScratchSize: 0
; MemoryBound: 0
; FloatMode: 240
; IeeeMode: 1
; LDSByteSize: 0 bytes/workgroup (compile time only)
; SGPRBlocks: 1
; VGPRBlocks: 0
; NumSGPRsForWavesPerEU: 11
; NumVGPRsForWavesPerEU: 3
; AccumOffset: 4
; Occupancy: 8
; WaveLimiterHint : 0
; COMPUTE_PGM_RSRC2:SCRATCH_EN: 0
; COMPUTE_PGM_RSRC2:USER_SGPR: 6
; COMPUTE_PGM_RSRC2:TRAP_HANDLER: 0
; COMPUTE_PGM_RSRC2:TGID_X_EN: 1
; COMPUTE_PGM_RSRC2:TGID_Y_EN: 0
; COMPUTE_PGM_RSRC2:TGID_Z_EN: 0
; COMPUTE_PGM_RSRC2:TIDIG_COMP_CNT: 0
; COMPUTE_PGM_RSRC3_GFX90A:ACCUM_OFFSET: 0
; COMPUTE_PGM_RSRC3_GFX90A:TG_SPLIT: 0
	.section	.text._Z16operation_kernelIiLj256ELj4EL23memory_operation_method2E9operationIL16kernel_operation0EiLj4ELj256EEEvPT_S5_T3_,"axG",@progbits,_Z16operation_kernelIiLj256ELj4EL23memory_operation_method2E9operationIL16kernel_operation0EiLj4ELj256EEEvPT_S5_T3_,comdat
	.protected	_Z16operation_kernelIiLj256ELj4EL23memory_operation_method2E9operationIL16kernel_operation0EiLj4ELj256EEEvPT_S5_T3_ ; -- Begin function _Z16operation_kernelIiLj256ELj4EL23memory_operation_method2E9operationIL16kernel_operation0EiLj4ELj256EEEvPT_S5_T3_
	.globl	_Z16operation_kernelIiLj256ELj4EL23memory_operation_method2E9operationIL16kernel_operation0EiLj4ELj256EEEvPT_S5_T3_
	.p2align	8
	.type	_Z16operation_kernelIiLj256ELj4EL23memory_operation_method2E9operationIL16kernel_operation0EiLj4ELj256EEEvPT_S5_T3_,@function
_Z16operation_kernelIiLj256ELj4EL23memory_operation_method2E9operationIL16kernel_operation0EiLj4ELj256EEEvPT_S5_T3_: ; @_Z16operation_kernelIiLj256ELj4EL23memory_operation_method2E9operationIL16kernel_operation0EiLj4ELj256EEEvPT_S5_T3_
; %bb.0:
	s_load_dwordx4 s[0:3], s[4:5], 0x0
	s_lshl_b32 s4, s6, 10
	s_mov_b32 s5, 0
	s_lshl_b64 s[4:5], s[4:5], 2
	v_lshlrev_b32_e32 v4, 4, v0
	s_waitcnt lgkmcnt(0)
	s_add_u32 s0, s0, s4
	s_addc_u32 s1, s1, s5
	global_load_dwordx4 v[0:3], v4, s[0:1]
	s_add_u32 s0, s2, s4
	s_addc_u32 s1, s3, s5
	s_barrier
	s_waitcnt vmcnt(0)
	global_store_dwordx4 v4, v[0:3], s[0:1]
	s_endpgm
	.section	.rodata,"a",@progbits
	.p2align	6, 0x0
	.amdhsa_kernel _Z16operation_kernelIiLj256ELj4EL23memory_operation_method2E9operationIL16kernel_operation0EiLj4ELj256EEEvPT_S5_T3_
		.amdhsa_group_segment_fixed_size 0
		.amdhsa_private_segment_fixed_size 0
		.amdhsa_kernarg_size 20
		.amdhsa_user_sgpr_count 6
		.amdhsa_user_sgpr_private_segment_buffer 1
		.amdhsa_user_sgpr_dispatch_ptr 0
		.amdhsa_user_sgpr_queue_ptr 0
		.amdhsa_user_sgpr_kernarg_segment_ptr 1
		.amdhsa_user_sgpr_dispatch_id 0
		.amdhsa_user_sgpr_flat_scratch_init 0
		.amdhsa_user_sgpr_kernarg_preload_length 0
		.amdhsa_user_sgpr_kernarg_preload_offset 0
		.amdhsa_user_sgpr_private_segment_size 0
		.amdhsa_uses_dynamic_stack 0
		.amdhsa_system_sgpr_private_segment_wavefront_offset 0
		.amdhsa_system_sgpr_workgroup_id_x 1
		.amdhsa_system_sgpr_workgroup_id_y 0
		.amdhsa_system_sgpr_workgroup_id_z 0
		.amdhsa_system_sgpr_workgroup_info 0
		.amdhsa_system_vgpr_workitem_id 0
		.amdhsa_next_free_vgpr 5
		.amdhsa_next_free_sgpr 7
		.amdhsa_accum_offset 8
		.amdhsa_reserve_vcc 0
		.amdhsa_reserve_flat_scratch 0
		.amdhsa_float_round_mode_32 0
		.amdhsa_float_round_mode_16_64 0
		.amdhsa_float_denorm_mode_32 3
		.amdhsa_float_denorm_mode_16_64 3
		.amdhsa_dx10_clamp 1
		.amdhsa_ieee_mode 1
		.amdhsa_fp16_overflow 0
		.amdhsa_tg_split 0
		.amdhsa_exception_fp_ieee_invalid_op 0
		.amdhsa_exception_fp_denorm_src 0
		.amdhsa_exception_fp_ieee_div_zero 0
		.amdhsa_exception_fp_ieee_overflow 0
		.amdhsa_exception_fp_ieee_underflow 0
		.amdhsa_exception_fp_ieee_inexact 0
		.amdhsa_exception_int_div_zero 0
	.end_amdhsa_kernel
	.section	.text._Z16operation_kernelIiLj256ELj4EL23memory_operation_method2E9operationIL16kernel_operation0EiLj4ELj256EEEvPT_S5_T3_,"axG",@progbits,_Z16operation_kernelIiLj256ELj4EL23memory_operation_method2E9operationIL16kernel_operation0EiLj4ELj256EEEvPT_S5_T3_,comdat
.Lfunc_end10:
	.size	_Z16operation_kernelIiLj256ELj4EL23memory_operation_method2E9operationIL16kernel_operation0EiLj4ELj256EEEvPT_S5_T3_, .Lfunc_end10-_Z16operation_kernelIiLj256ELj4EL23memory_operation_method2E9operationIL16kernel_operation0EiLj4ELj256EEEvPT_S5_T3_
                                        ; -- End function
	.section	.AMDGPU.csdata,"",@progbits
; Kernel info:
; codeLenInByte = 72
; NumSgprs: 11
; NumVgprs: 5
; NumAgprs: 0
; TotalNumVgprs: 5
; ScratchSize: 0
; MemoryBound: 0
; FloatMode: 240
; IeeeMode: 1
; LDSByteSize: 0 bytes/workgroup (compile time only)
; SGPRBlocks: 1
; VGPRBlocks: 0
; NumSGPRsForWavesPerEU: 11
; NumVGPRsForWavesPerEU: 5
; AccumOffset: 8
; Occupancy: 8
; WaveLimiterHint : 0
; COMPUTE_PGM_RSRC2:SCRATCH_EN: 0
; COMPUTE_PGM_RSRC2:USER_SGPR: 6
; COMPUTE_PGM_RSRC2:TRAP_HANDLER: 0
; COMPUTE_PGM_RSRC2:TGID_X_EN: 1
; COMPUTE_PGM_RSRC2:TGID_Y_EN: 0
; COMPUTE_PGM_RSRC2:TGID_Z_EN: 0
; COMPUTE_PGM_RSRC2:TIDIG_COMP_CNT: 0
; COMPUTE_PGM_RSRC3_GFX90A:ACCUM_OFFSET: 1
; COMPUTE_PGM_RSRC3_GFX90A:TG_SPLIT: 0
	.section	.text._Z16operation_kernelIiLj256ELj8EL23memory_operation_method2E9operationIL16kernel_operation0EiLj8ELj256EEEvPT_S5_T3_,"axG",@progbits,_Z16operation_kernelIiLj256ELj8EL23memory_operation_method2E9operationIL16kernel_operation0EiLj8ELj256EEEvPT_S5_T3_,comdat
	.protected	_Z16operation_kernelIiLj256ELj8EL23memory_operation_method2E9operationIL16kernel_operation0EiLj8ELj256EEEvPT_S5_T3_ ; -- Begin function _Z16operation_kernelIiLj256ELj8EL23memory_operation_method2E9operationIL16kernel_operation0EiLj8ELj256EEEvPT_S5_T3_
	.globl	_Z16operation_kernelIiLj256ELj8EL23memory_operation_method2E9operationIL16kernel_operation0EiLj8ELj256EEEvPT_S5_T3_
	.p2align	8
	.type	_Z16operation_kernelIiLj256ELj8EL23memory_operation_method2E9operationIL16kernel_operation0EiLj8ELj256EEEvPT_S5_T3_,@function
_Z16operation_kernelIiLj256ELj8EL23memory_operation_method2E9operationIL16kernel_operation0EiLj8ELj256EEEvPT_S5_T3_: ; @_Z16operation_kernelIiLj256ELj8EL23memory_operation_method2E9operationIL16kernel_operation0EiLj8ELj256EEEvPT_S5_T3_
; %bb.0:
	s_load_dwordx4 s[0:3], s[4:5], 0x0
	s_lshl_b32 s4, s6, 11
	s_mov_b32 s5, 0
	s_lshl_b64 s[4:5], s[4:5], 2
	v_lshlrev_b32_e32 v8, 5, v0
	s_waitcnt lgkmcnt(0)
	s_add_u32 s0, s0, s4
	s_addc_u32 s1, s1, s5
	global_load_dwordx4 v[0:3], v8, s[0:1]
	global_load_dwordx4 v[4:7], v8, s[0:1] offset:16
	s_add_u32 s0, s2, s4
	s_addc_u32 s1, s3, s5
	s_barrier
	s_waitcnt vmcnt(1)
	global_store_dwordx4 v8, v[0:3], s[0:1]
	s_waitcnt vmcnt(1)
	global_store_dwordx4 v8, v[4:7], s[0:1] offset:16
	s_endpgm
	.section	.rodata,"a",@progbits
	.p2align	6, 0x0
	.amdhsa_kernel _Z16operation_kernelIiLj256ELj8EL23memory_operation_method2E9operationIL16kernel_operation0EiLj8ELj256EEEvPT_S5_T3_
		.amdhsa_group_segment_fixed_size 0
		.amdhsa_private_segment_fixed_size 0
		.amdhsa_kernarg_size 20
		.amdhsa_user_sgpr_count 6
		.amdhsa_user_sgpr_private_segment_buffer 1
		.amdhsa_user_sgpr_dispatch_ptr 0
		.amdhsa_user_sgpr_queue_ptr 0
		.amdhsa_user_sgpr_kernarg_segment_ptr 1
		.amdhsa_user_sgpr_dispatch_id 0
		.amdhsa_user_sgpr_flat_scratch_init 0
		.amdhsa_user_sgpr_kernarg_preload_length 0
		.amdhsa_user_sgpr_kernarg_preload_offset 0
		.amdhsa_user_sgpr_private_segment_size 0
		.amdhsa_uses_dynamic_stack 0
		.amdhsa_system_sgpr_private_segment_wavefront_offset 0
		.amdhsa_system_sgpr_workgroup_id_x 1
		.amdhsa_system_sgpr_workgroup_id_y 0
		.amdhsa_system_sgpr_workgroup_id_z 0
		.amdhsa_system_sgpr_workgroup_info 0
		.amdhsa_system_vgpr_workitem_id 0
		.amdhsa_next_free_vgpr 9
		.amdhsa_next_free_sgpr 7
		.amdhsa_accum_offset 12
		.amdhsa_reserve_vcc 0
		.amdhsa_reserve_flat_scratch 0
		.amdhsa_float_round_mode_32 0
		.amdhsa_float_round_mode_16_64 0
		.amdhsa_float_denorm_mode_32 3
		.amdhsa_float_denorm_mode_16_64 3
		.amdhsa_dx10_clamp 1
		.amdhsa_ieee_mode 1
		.amdhsa_fp16_overflow 0
		.amdhsa_tg_split 0
		.amdhsa_exception_fp_ieee_invalid_op 0
		.amdhsa_exception_fp_denorm_src 0
		.amdhsa_exception_fp_ieee_div_zero 0
		.amdhsa_exception_fp_ieee_overflow 0
		.amdhsa_exception_fp_ieee_underflow 0
		.amdhsa_exception_fp_ieee_inexact 0
		.amdhsa_exception_int_div_zero 0
	.end_amdhsa_kernel
	.section	.text._Z16operation_kernelIiLj256ELj8EL23memory_operation_method2E9operationIL16kernel_operation0EiLj8ELj256EEEvPT_S5_T3_,"axG",@progbits,_Z16operation_kernelIiLj256ELj8EL23memory_operation_method2E9operationIL16kernel_operation0EiLj8ELj256EEEvPT_S5_T3_,comdat
.Lfunc_end11:
	.size	_Z16operation_kernelIiLj256ELj8EL23memory_operation_method2E9operationIL16kernel_operation0EiLj8ELj256EEEvPT_S5_T3_, .Lfunc_end11-_Z16operation_kernelIiLj256ELj8EL23memory_operation_method2E9operationIL16kernel_operation0EiLj8ELj256EEEvPT_S5_T3_
                                        ; -- End function
	.section	.AMDGPU.csdata,"",@progbits
; Kernel info:
; codeLenInByte = 92
; NumSgprs: 11
; NumVgprs: 9
; NumAgprs: 0
; TotalNumVgprs: 9
; ScratchSize: 0
; MemoryBound: 0
; FloatMode: 240
; IeeeMode: 1
; LDSByteSize: 0 bytes/workgroup (compile time only)
; SGPRBlocks: 1
; VGPRBlocks: 1
; NumSGPRsForWavesPerEU: 11
; NumVGPRsForWavesPerEU: 9
; AccumOffset: 12
; Occupancy: 8
; WaveLimiterHint : 0
; COMPUTE_PGM_RSRC2:SCRATCH_EN: 0
; COMPUTE_PGM_RSRC2:USER_SGPR: 6
; COMPUTE_PGM_RSRC2:TRAP_HANDLER: 0
; COMPUTE_PGM_RSRC2:TGID_X_EN: 1
; COMPUTE_PGM_RSRC2:TGID_Y_EN: 0
; COMPUTE_PGM_RSRC2:TGID_Z_EN: 0
; COMPUTE_PGM_RSRC2:TIDIG_COMP_CNT: 0
; COMPUTE_PGM_RSRC3_GFX90A:ACCUM_OFFSET: 2
; COMPUTE_PGM_RSRC3_GFX90A:TG_SPLIT: 0
	.section	.text._Z16operation_kernelIiLj256ELj1EL23memory_operation_method3E9operationIL16kernel_operation0EiLj1ELj256EEEvPT_S5_T3_,"axG",@progbits,_Z16operation_kernelIiLj256ELj1EL23memory_operation_method3E9operationIL16kernel_operation0EiLj1ELj256EEEvPT_S5_T3_,comdat
	.protected	_Z16operation_kernelIiLj256ELj1EL23memory_operation_method3E9operationIL16kernel_operation0EiLj1ELj256EEEvPT_S5_T3_ ; -- Begin function _Z16operation_kernelIiLj256ELj1EL23memory_operation_method3E9operationIL16kernel_operation0EiLj1ELj256EEEvPT_S5_T3_
	.globl	_Z16operation_kernelIiLj256ELj1EL23memory_operation_method3E9operationIL16kernel_operation0EiLj1ELj256EEEvPT_S5_T3_
	.p2align	8
	.type	_Z16operation_kernelIiLj256ELj1EL23memory_operation_method3E9operationIL16kernel_operation0EiLj1ELj256EEEvPT_S5_T3_,@function
_Z16operation_kernelIiLj256ELj1EL23memory_operation_method3E9operationIL16kernel_operation0EiLj1ELj256EEEvPT_S5_T3_: ; @_Z16operation_kernelIiLj256ELj1EL23memory_operation_method3E9operationIL16kernel_operation0EiLj1ELj256EEEvPT_S5_T3_
; %bb.0:
	s_load_dwordx4 s[0:3], s[4:5], 0x0
	s_lshl_b32 s4, s6, 8
	s_mov_b32 s5, 0
	s_lshl_b64 s[4:5], s[4:5], 2
	v_lshlrev_b32_e32 v0, 2, v0
	s_waitcnt lgkmcnt(0)
	s_add_u32 s0, s0, s4
	s_addc_u32 s1, s1, s5
	global_load_dword v1, v0, s[0:1]
	s_add_u32 s0, s2, s4
	s_addc_u32 s1, s3, s5
	s_waitcnt vmcnt(0)
	ds_write_b32 v0, v1
	s_waitcnt lgkmcnt(0)
	s_barrier
	ds_read_b32 v1, v0
	s_waitcnt lgkmcnt(0)
	s_barrier
	ds_write_b32 v0, v1
	s_waitcnt lgkmcnt(0)
	s_barrier
	ds_read_b32 v1, v0
	s_waitcnt lgkmcnt(0)
	global_store_dword v0, v1, s[0:1]
	s_endpgm
	.section	.rodata,"a",@progbits
	.p2align	6, 0x0
	.amdhsa_kernel _Z16operation_kernelIiLj256ELj1EL23memory_operation_method3E9operationIL16kernel_operation0EiLj1ELj256EEEvPT_S5_T3_
		.amdhsa_group_segment_fixed_size 1024
		.amdhsa_private_segment_fixed_size 0
		.amdhsa_kernarg_size 20
		.amdhsa_user_sgpr_count 6
		.amdhsa_user_sgpr_private_segment_buffer 1
		.amdhsa_user_sgpr_dispatch_ptr 0
		.amdhsa_user_sgpr_queue_ptr 0
		.amdhsa_user_sgpr_kernarg_segment_ptr 1
		.amdhsa_user_sgpr_dispatch_id 0
		.amdhsa_user_sgpr_flat_scratch_init 0
		.amdhsa_user_sgpr_kernarg_preload_length 0
		.amdhsa_user_sgpr_kernarg_preload_offset 0
		.amdhsa_user_sgpr_private_segment_size 0
		.amdhsa_uses_dynamic_stack 0
		.amdhsa_system_sgpr_private_segment_wavefront_offset 0
		.amdhsa_system_sgpr_workgroup_id_x 1
		.amdhsa_system_sgpr_workgroup_id_y 0
		.amdhsa_system_sgpr_workgroup_id_z 0
		.amdhsa_system_sgpr_workgroup_info 0
		.amdhsa_system_vgpr_workitem_id 0
		.amdhsa_next_free_vgpr 2
		.amdhsa_next_free_sgpr 7
		.amdhsa_accum_offset 4
		.amdhsa_reserve_vcc 0
		.amdhsa_reserve_flat_scratch 0
		.amdhsa_float_round_mode_32 0
		.amdhsa_float_round_mode_16_64 0
		.amdhsa_float_denorm_mode_32 3
		.amdhsa_float_denorm_mode_16_64 3
		.amdhsa_dx10_clamp 1
		.amdhsa_ieee_mode 1
		.amdhsa_fp16_overflow 0
		.amdhsa_tg_split 0
		.amdhsa_exception_fp_ieee_invalid_op 0
		.amdhsa_exception_fp_denorm_src 0
		.amdhsa_exception_fp_ieee_div_zero 0
		.amdhsa_exception_fp_ieee_overflow 0
		.amdhsa_exception_fp_ieee_underflow 0
		.amdhsa_exception_fp_ieee_inexact 0
		.amdhsa_exception_int_div_zero 0
	.end_amdhsa_kernel
	.section	.text._Z16operation_kernelIiLj256ELj1EL23memory_operation_method3E9operationIL16kernel_operation0EiLj1ELj256EEEvPT_S5_T3_,"axG",@progbits,_Z16operation_kernelIiLj256ELj1EL23memory_operation_method3E9operationIL16kernel_operation0EiLj1ELj256EEEvPT_S5_T3_,comdat
.Lfunc_end12:
	.size	_Z16operation_kernelIiLj256ELj1EL23memory_operation_method3E9operationIL16kernel_operation0EiLj1ELj256EEEvPT_S5_T3_, .Lfunc_end12-_Z16operation_kernelIiLj256ELj1EL23memory_operation_method3E9operationIL16kernel_operation0EiLj1ELj256EEEvPT_S5_T3_
                                        ; -- End function
	.section	.AMDGPU.csdata,"",@progbits
; Kernel info:
; codeLenInByte = 128
; NumSgprs: 11
; NumVgprs: 2
; NumAgprs: 0
; TotalNumVgprs: 2
; ScratchSize: 0
; MemoryBound: 0
; FloatMode: 240
; IeeeMode: 1
; LDSByteSize: 1024 bytes/workgroup (compile time only)
; SGPRBlocks: 1
; VGPRBlocks: 0
; NumSGPRsForWavesPerEU: 11
; NumVGPRsForWavesPerEU: 2
; AccumOffset: 4
; Occupancy: 8
; WaveLimiterHint : 0
; COMPUTE_PGM_RSRC2:SCRATCH_EN: 0
; COMPUTE_PGM_RSRC2:USER_SGPR: 6
; COMPUTE_PGM_RSRC2:TRAP_HANDLER: 0
; COMPUTE_PGM_RSRC2:TGID_X_EN: 1
; COMPUTE_PGM_RSRC2:TGID_Y_EN: 0
; COMPUTE_PGM_RSRC2:TGID_Z_EN: 0
; COMPUTE_PGM_RSRC2:TIDIG_COMP_CNT: 0
; COMPUTE_PGM_RSRC3_GFX90A:ACCUM_OFFSET: 0
; COMPUTE_PGM_RSRC3_GFX90A:TG_SPLIT: 0
	.section	.text._Z16operation_kernelIiLj256ELj2EL23memory_operation_method3E9operationIL16kernel_operation0EiLj2ELj256EEEvPT_S5_T3_,"axG",@progbits,_Z16operation_kernelIiLj256ELj2EL23memory_operation_method3E9operationIL16kernel_operation0EiLj2ELj256EEEvPT_S5_T3_,comdat
	.protected	_Z16operation_kernelIiLj256ELj2EL23memory_operation_method3E9operationIL16kernel_operation0EiLj2ELj256EEEvPT_S5_T3_ ; -- Begin function _Z16operation_kernelIiLj256ELj2EL23memory_operation_method3E9operationIL16kernel_operation0EiLj2ELj256EEEvPT_S5_T3_
	.globl	_Z16operation_kernelIiLj256ELj2EL23memory_operation_method3E9operationIL16kernel_operation0EiLj2ELj256EEEvPT_S5_T3_
	.p2align	8
	.type	_Z16operation_kernelIiLj256ELj2EL23memory_operation_method3E9operationIL16kernel_operation0EiLj2ELj256EEEvPT_S5_T3_,@function
_Z16operation_kernelIiLj256ELj2EL23memory_operation_method3E9operationIL16kernel_operation0EiLj2ELj256EEEvPT_S5_T3_: ; @_Z16operation_kernelIiLj256ELj2EL23memory_operation_method3E9operationIL16kernel_operation0EiLj2ELj256EEEvPT_S5_T3_
; %bb.0:
	s_load_dwordx4 s[0:3], s[4:5], 0x0
	s_lshl_b32 s4, s6, 9
	s_mov_b32 s5, 0
	s_lshl_b64 s[4:5], s[4:5], 2
	v_lshlrev_b32_e32 v2, 2, v0
	s_waitcnt lgkmcnt(0)
	s_add_u32 s0, s0, s4
	s_addc_u32 s1, s1, s5
	global_load_dword v1, v2, s[0:1]
	global_load_dword v3, v2, s[0:1] offset:1024
	v_lshrrev_b32_e32 v4, 5, v0
	v_or_b32_e32 v5, 0x100, v0
	v_lshlrev_b32_e32 v6, 1, v0
	v_lshrrev_b32_e32 v7, 4, v0
	v_add_lshl_u32 v4, v4, v0, 2
	v_lshrrev_b32_e32 v5, 5, v5
	v_add_lshl_u32 v6, v7, v6, 2
	v_add_lshl_u32 v5, v5, v0, 2
	s_add_u32 s0, s2, s4
	s_addc_u32 s1, s3, s5
	s_waitcnt vmcnt(1)
	ds_write_b32 v4, v1
	s_waitcnt vmcnt(0)
	ds_write_b32 v5, v3 offset:1024
	s_waitcnt lgkmcnt(0)
	s_barrier
	ds_read2_b32 v[0:1], v6 offset1:1
	s_waitcnt lgkmcnt(0)
	s_barrier
	ds_write2_b32 v6, v0, v1 offset1:1
	s_waitcnt lgkmcnt(0)
	s_barrier
	ds_read_b32 v0, v4
	ds_read_b32 v1, v5 offset:1024
	s_waitcnt lgkmcnt(1)
	global_store_dword v2, v0, s[0:1]
	s_waitcnt lgkmcnt(0)
	global_store_dword v2, v1, s[0:1] offset:1024
	s_endpgm
	.section	.rodata,"a",@progbits
	.p2align	6, 0x0
	.amdhsa_kernel _Z16operation_kernelIiLj256ELj2EL23memory_operation_method3E9operationIL16kernel_operation0EiLj2ELj256EEEvPT_S5_T3_
		.amdhsa_group_segment_fixed_size 2112
		.amdhsa_private_segment_fixed_size 0
		.amdhsa_kernarg_size 20
		.amdhsa_user_sgpr_count 6
		.amdhsa_user_sgpr_private_segment_buffer 1
		.amdhsa_user_sgpr_dispatch_ptr 0
		.amdhsa_user_sgpr_queue_ptr 0
		.amdhsa_user_sgpr_kernarg_segment_ptr 1
		.amdhsa_user_sgpr_dispatch_id 0
		.amdhsa_user_sgpr_flat_scratch_init 0
		.amdhsa_user_sgpr_kernarg_preload_length 0
		.amdhsa_user_sgpr_kernarg_preload_offset 0
		.amdhsa_user_sgpr_private_segment_size 0
		.amdhsa_uses_dynamic_stack 0
		.amdhsa_system_sgpr_private_segment_wavefront_offset 0
		.amdhsa_system_sgpr_workgroup_id_x 1
		.amdhsa_system_sgpr_workgroup_id_y 0
		.amdhsa_system_sgpr_workgroup_id_z 0
		.amdhsa_system_sgpr_workgroup_info 0
		.amdhsa_system_vgpr_workitem_id 0
		.amdhsa_next_free_vgpr 8
		.amdhsa_next_free_sgpr 7
		.amdhsa_accum_offset 8
		.amdhsa_reserve_vcc 0
		.amdhsa_reserve_flat_scratch 0
		.amdhsa_float_round_mode_32 0
		.amdhsa_float_round_mode_16_64 0
		.amdhsa_float_denorm_mode_32 3
		.amdhsa_float_denorm_mode_16_64 3
		.amdhsa_dx10_clamp 1
		.amdhsa_ieee_mode 1
		.amdhsa_fp16_overflow 0
		.amdhsa_tg_split 0
		.amdhsa_exception_fp_ieee_invalid_op 0
		.amdhsa_exception_fp_denorm_src 0
		.amdhsa_exception_fp_ieee_div_zero 0
		.amdhsa_exception_fp_ieee_overflow 0
		.amdhsa_exception_fp_ieee_underflow 0
		.amdhsa_exception_fp_ieee_inexact 0
		.amdhsa_exception_int_div_zero 0
	.end_amdhsa_kernel
	.section	.text._Z16operation_kernelIiLj256ELj2EL23memory_operation_method3E9operationIL16kernel_operation0EiLj2ELj256EEEvPT_S5_T3_,"axG",@progbits,_Z16operation_kernelIiLj256ELj2EL23memory_operation_method3E9operationIL16kernel_operation0EiLj2ELj256EEEvPT_S5_T3_,comdat
.Lfunc_end13:
	.size	_Z16operation_kernelIiLj256ELj2EL23memory_operation_method3E9operationIL16kernel_operation0EiLj2ELj256EEEvPT_S5_T3_, .Lfunc_end13-_Z16operation_kernelIiLj256ELj2EL23memory_operation_method3E9operationIL16kernel_operation0EiLj2ELj256EEEvPT_S5_T3_
                                        ; -- End function
	.section	.AMDGPU.csdata,"",@progbits
; Kernel info:
; codeLenInByte = 216
; NumSgprs: 11
; NumVgprs: 8
; NumAgprs: 0
; TotalNumVgprs: 8
; ScratchSize: 0
; MemoryBound: 0
; FloatMode: 240
; IeeeMode: 1
; LDSByteSize: 2112 bytes/workgroup (compile time only)
; SGPRBlocks: 1
; VGPRBlocks: 0
; NumSGPRsForWavesPerEU: 11
; NumVGPRsForWavesPerEU: 8
; AccumOffset: 8
; Occupancy: 8
; WaveLimiterHint : 1
; COMPUTE_PGM_RSRC2:SCRATCH_EN: 0
; COMPUTE_PGM_RSRC2:USER_SGPR: 6
; COMPUTE_PGM_RSRC2:TRAP_HANDLER: 0
; COMPUTE_PGM_RSRC2:TGID_X_EN: 1
; COMPUTE_PGM_RSRC2:TGID_Y_EN: 0
; COMPUTE_PGM_RSRC2:TGID_Z_EN: 0
; COMPUTE_PGM_RSRC2:TIDIG_COMP_CNT: 0
; COMPUTE_PGM_RSRC3_GFX90A:ACCUM_OFFSET: 1
; COMPUTE_PGM_RSRC3_GFX90A:TG_SPLIT: 0
	.section	.text._Z16operation_kernelIiLj256ELj4EL23memory_operation_method3E9operationIL16kernel_operation0EiLj4ELj256EEEvPT_S5_T3_,"axG",@progbits,_Z16operation_kernelIiLj256ELj4EL23memory_operation_method3E9operationIL16kernel_operation0EiLj4ELj256EEEvPT_S5_T3_,comdat
	.protected	_Z16operation_kernelIiLj256ELj4EL23memory_operation_method3E9operationIL16kernel_operation0EiLj4ELj256EEEvPT_S5_T3_ ; -- Begin function _Z16operation_kernelIiLj256ELj4EL23memory_operation_method3E9operationIL16kernel_operation0EiLj4ELj256EEEvPT_S5_T3_
	.globl	_Z16operation_kernelIiLj256ELj4EL23memory_operation_method3E9operationIL16kernel_operation0EiLj4ELj256EEEvPT_S5_T3_
	.p2align	8
	.type	_Z16operation_kernelIiLj256ELj4EL23memory_operation_method3E9operationIL16kernel_operation0EiLj4ELj256EEEvPT_S5_T3_,@function
_Z16operation_kernelIiLj256ELj4EL23memory_operation_method3E9operationIL16kernel_operation0EiLj4ELj256EEEvPT_S5_T3_: ; @_Z16operation_kernelIiLj256ELj4EL23memory_operation_method3E9operationIL16kernel_operation0EiLj4ELj256EEEvPT_S5_T3_
; %bb.0:
	s_load_dwordx4 s[0:3], s[4:5], 0x0
	s_lshl_b32 s4, s6, 10
	s_mov_b32 s5, 0
	s_lshl_b64 s[4:5], s[4:5], 2
	v_lshlrev_b32_e32 v4, 2, v0
	s_waitcnt lgkmcnt(0)
	s_add_u32 s0, s0, s4
	s_addc_u32 s1, s1, s5
	global_load_dword v1, v4, s[0:1]
	global_load_dword v2, v4, s[0:1] offset:1024
	global_load_dword v3, v4, s[0:1] offset:2048
	;; [unrolled: 1-line block ×3, first 2 shown]
	v_lshrrev_b32_e32 v6, 5, v0
	v_or_b32_e32 v7, 0x100, v0
	v_or_b32_e32 v8, 0x200, v0
	;; [unrolled: 1-line block ×3, first 2 shown]
	v_lshrrev_b32_e32 v10, 3, v0
	v_add_lshl_u32 v6, v6, v0, 2
	v_lshrrev_b32_e32 v7, 5, v7
	v_lshrrev_b32_e32 v8, 5, v8
	;; [unrolled: 1-line block ×3, first 2 shown]
	v_add_lshl_u32 v10, v10, v4, 2
	v_add_lshl_u32 v7, v7, v0, 2
	;; [unrolled: 1-line block ×4, first 2 shown]
	s_add_u32 s0, s2, s4
	s_addc_u32 s1, s3, s5
	s_waitcnt vmcnt(3)
	ds_write_b32 v6, v1
	s_waitcnt vmcnt(2)
	ds_write_b32 v7, v2 offset:1024
	s_waitcnt vmcnt(1)
	ds_write_b32 v8, v3 offset:2048
	;; [unrolled: 2-line block ×3, first 2 shown]
	s_waitcnt lgkmcnt(0)
	s_barrier
	ds_read2_b32 v[0:1], v10 offset1:1
	ds_read2_b32 v[2:3], v10 offset0:2 offset1:3
	s_waitcnt lgkmcnt(0)
	s_barrier
	ds_write2_b32 v10, v0, v1 offset1:1
	ds_write2_b32 v10, v2, v3 offset0:2 offset1:3
	s_waitcnt lgkmcnt(0)
	s_barrier
	ds_read_b32 v0, v6
	ds_read_b32 v1, v7 offset:1024
	ds_read_b32 v2, v8 offset:2048
	;; [unrolled: 1-line block ×3, first 2 shown]
	s_waitcnt lgkmcnt(3)
	global_store_dword v4, v0, s[0:1]
	s_waitcnt lgkmcnt(2)
	global_store_dword v4, v1, s[0:1] offset:1024
	s_waitcnt lgkmcnt(1)
	global_store_dword v4, v2, s[0:1] offset:2048
	;; [unrolled: 2-line block ×3, first 2 shown]
	s_endpgm
	.section	.rodata,"a",@progbits
	.p2align	6, 0x0
	.amdhsa_kernel _Z16operation_kernelIiLj256ELj4EL23memory_operation_method3E9operationIL16kernel_operation0EiLj4ELj256EEEvPT_S5_T3_
		.amdhsa_group_segment_fixed_size 4224
		.amdhsa_private_segment_fixed_size 0
		.amdhsa_kernarg_size 20
		.amdhsa_user_sgpr_count 6
		.amdhsa_user_sgpr_private_segment_buffer 1
		.amdhsa_user_sgpr_dispatch_ptr 0
		.amdhsa_user_sgpr_queue_ptr 0
		.amdhsa_user_sgpr_kernarg_segment_ptr 1
		.amdhsa_user_sgpr_dispatch_id 0
		.amdhsa_user_sgpr_flat_scratch_init 0
		.amdhsa_user_sgpr_kernarg_preload_length 0
		.amdhsa_user_sgpr_kernarg_preload_offset 0
		.amdhsa_user_sgpr_private_segment_size 0
		.amdhsa_uses_dynamic_stack 0
		.amdhsa_system_sgpr_private_segment_wavefront_offset 0
		.amdhsa_system_sgpr_workgroup_id_x 1
		.amdhsa_system_sgpr_workgroup_id_y 0
		.amdhsa_system_sgpr_workgroup_id_z 0
		.amdhsa_system_sgpr_workgroup_info 0
		.amdhsa_system_vgpr_workitem_id 0
		.amdhsa_next_free_vgpr 11
		.amdhsa_next_free_sgpr 7
		.amdhsa_accum_offset 12
		.amdhsa_reserve_vcc 0
		.amdhsa_reserve_flat_scratch 0
		.amdhsa_float_round_mode_32 0
		.amdhsa_float_round_mode_16_64 0
		.amdhsa_float_denorm_mode_32 3
		.amdhsa_float_denorm_mode_16_64 3
		.amdhsa_dx10_clamp 1
		.amdhsa_ieee_mode 1
		.amdhsa_fp16_overflow 0
		.amdhsa_tg_split 0
		.amdhsa_exception_fp_ieee_invalid_op 0
		.amdhsa_exception_fp_denorm_src 0
		.amdhsa_exception_fp_ieee_div_zero 0
		.amdhsa_exception_fp_ieee_overflow 0
		.amdhsa_exception_fp_ieee_underflow 0
		.amdhsa_exception_fp_ieee_inexact 0
		.amdhsa_exception_int_div_zero 0
	.end_amdhsa_kernel
	.section	.text._Z16operation_kernelIiLj256ELj4EL23memory_operation_method3E9operationIL16kernel_operation0EiLj4ELj256EEEvPT_S5_T3_,"axG",@progbits,_Z16operation_kernelIiLj256ELj4EL23memory_operation_method3E9operationIL16kernel_operation0EiLj4ELj256EEEvPT_S5_T3_,comdat
.Lfunc_end14:
	.size	_Z16operation_kernelIiLj256ELj4EL23memory_operation_method3E9operationIL16kernel_operation0EiLj4ELj256EEEvPT_S5_T3_, .Lfunc_end14-_Z16operation_kernelIiLj256ELj4EL23memory_operation_method3E9operationIL16kernel_operation0EiLj4ELj256EEEvPT_S5_T3_
                                        ; -- End function
	.section	.AMDGPU.csdata,"",@progbits
; Kernel info:
; codeLenInByte = 348
; NumSgprs: 11
; NumVgprs: 11
; NumAgprs: 0
; TotalNumVgprs: 11
; ScratchSize: 0
; MemoryBound: 0
; FloatMode: 240
; IeeeMode: 1
; LDSByteSize: 4224 bytes/workgroup (compile time only)
; SGPRBlocks: 1
; VGPRBlocks: 1
; NumSGPRsForWavesPerEU: 11
; NumVGPRsForWavesPerEU: 11
; AccumOffset: 12
; Occupancy: 8
; WaveLimiterHint : 1
; COMPUTE_PGM_RSRC2:SCRATCH_EN: 0
; COMPUTE_PGM_RSRC2:USER_SGPR: 6
; COMPUTE_PGM_RSRC2:TRAP_HANDLER: 0
; COMPUTE_PGM_RSRC2:TGID_X_EN: 1
; COMPUTE_PGM_RSRC2:TGID_Y_EN: 0
; COMPUTE_PGM_RSRC2:TGID_Z_EN: 0
; COMPUTE_PGM_RSRC2:TIDIG_COMP_CNT: 0
; COMPUTE_PGM_RSRC3_GFX90A:ACCUM_OFFSET: 2
; COMPUTE_PGM_RSRC3_GFX90A:TG_SPLIT: 0
	.section	.text._Z16operation_kernelIiLj256ELj8EL23memory_operation_method3E9operationIL16kernel_operation0EiLj8ELj256EEEvPT_S5_T3_,"axG",@progbits,_Z16operation_kernelIiLj256ELj8EL23memory_operation_method3E9operationIL16kernel_operation0EiLj8ELj256EEEvPT_S5_T3_,comdat
	.protected	_Z16operation_kernelIiLj256ELj8EL23memory_operation_method3E9operationIL16kernel_operation0EiLj8ELj256EEEvPT_S5_T3_ ; -- Begin function _Z16operation_kernelIiLj256ELj8EL23memory_operation_method3E9operationIL16kernel_operation0EiLj8ELj256EEEvPT_S5_T3_
	.globl	_Z16operation_kernelIiLj256ELj8EL23memory_operation_method3E9operationIL16kernel_operation0EiLj8ELj256EEEvPT_S5_T3_
	.p2align	8
	.type	_Z16operation_kernelIiLj256ELj8EL23memory_operation_method3E9operationIL16kernel_operation0EiLj8ELj256EEEvPT_S5_T3_,@function
_Z16operation_kernelIiLj256ELj8EL23memory_operation_method3E9operationIL16kernel_operation0EiLj8ELj256EEEvPT_S5_T3_: ; @_Z16operation_kernelIiLj256ELj8EL23memory_operation_method3E9operationIL16kernel_operation0EiLj8ELj256EEEvPT_S5_T3_
; %bb.0:
	s_load_dwordx4 s[0:3], s[4:5], 0x0
	s_lshl_b32 s4, s6, 11
	s_mov_b32 s5, 0
	s_lshl_b64 s[4:5], s[4:5], 2
	v_lshlrev_b32_e32 v1, 2, v0
	s_waitcnt lgkmcnt(0)
	s_add_u32 s0, s0, s4
	s_addc_u32 s1, s1, s5
	v_mov_b32_e32 v2, s1
	v_add_co_u32_e32 v3, vcc, s0, v1
	v_addc_co_u32_e32 v4, vcc, 0, v2, vcc
	s_movk_i32 s6, 0x1000
	v_add_co_u32_e32 v2, vcc, s6, v3
	v_addc_co_u32_e32 v3, vcc, 0, v4, vcc
	global_load_dword v4, v1, s[0:1]
	global_load_dword v5, v1, s[0:1] offset:1024
	global_load_dword v6, v1, s[0:1] offset:2048
	;; [unrolled: 1-line block ×3, first 2 shown]
	global_load_dword v8, v[2:3], off
	global_load_dword v9, v[2:3], off offset:1024
	global_load_dword v10, v[2:3], off offset:2048
	;; [unrolled: 1-line block ×3, first 2 shown]
	v_lshrrev_b32_e32 v2, 5, v0
	v_or_b32_e32 v3, 0x100, v0
	v_or_b32_e32 v12, 0x200, v0
	;; [unrolled: 1-line block ×7, first 2 shown]
	s_add_u32 s0, s2, s4
	v_lshlrev_b32_e32 v18, 3, v0
	v_lshrrev_b32_e32 v19, 2, v0
	v_add_lshl_u32 v20, v2, v0, 2
	v_lshrrev_b32_e32 v2, 5, v3
	v_lshrrev_b32_e32 v3, 5, v12
	;; [unrolled: 1-line block ×7, first 2 shown]
	s_addc_u32 s1, s3, s5
	v_add_lshl_u32 v17, v19, v18, 2
	v_add_lshl_u32 v18, v2, v0, 2
	;; [unrolled: 1-line block ×8, first 2 shown]
	v_mov_b32_e32 v0, s1
	v_add_co_u32_e32 v2, vcc, s0, v1
	v_addc_co_u32_e32 v21, vcc, 0, v0, vcc
	v_add_co_u32_e32 v0, vcc, 0x1000, v2
	s_waitcnt vmcnt(7)
	ds_write_b32 v20, v4
	s_waitcnt vmcnt(6)
	ds_write_b32 v18, v5 offset:1024
	s_waitcnt vmcnt(5)
	ds_write_b32 v19, v6 offset:2048
	;; [unrolled: 2-line block ×7, first 2 shown]
	s_waitcnt lgkmcnt(0)
	s_barrier
	ds_read2_b32 v[2:3], v17 offset1:1
	ds_read2_b32 v[4:5], v17 offset0:2 offset1:3
	ds_read2_b32 v[6:7], v17 offset0:4 offset1:5
	;; [unrolled: 1-line block ×3, first 2 shown]
	s_waitcnt lgkmcnt(0)
	s_barrier
	ds_write2_b32 v17, v2, v3 offset1:1
	ds_write2_b32 v17, v4, v5 offset0:2 offset1:3
	ds_write2_b32 v17, v6, v7 offset0:4 offset1:5
	;; [unrolled: 1-line block ×3, first 2 shown]
	s_waitcnt lgkmcnt(0)
	s_barrier
	ds_read_b32 v2, v20
	ds_read_b32 v3, v18 offset:1024
	ds_read_b32 v4, v19 offset:2048
	;; [unrolled: 1-line block ×7, first 2 shown]
	s_waitcnt lgkmcnt(7)
	global_store_dword v1, v2, s[0:1]
	s_waitcnt lgkmcnt(6)
	global_store_dword v1, v3, s[0:1] offset:1024
	s_waitcnt lgkmcnt(5)
	global_store_dword v1, v4, s[0:1] offset:2048
	;; [unrolled: 2-line block ×3, first 2 shown]
	v_addc_co_u32_e32 v1, vcc, 0, v21, vcc
	s_waitcnt lgkmcnt(3)
	global_store_dword v[0:1], v6, off
	s_waitcnt lgkmcnt(2)
	global_store_dword v[0:1], v7, off offset:1024
	s_waitcnt lgkmcnt(1)
	global_store_dword v[0:1], v8, off offset:2048
	;; [unrolled: 2-line block ×3, first 2 shown]
	s_endpgm
	.section	.rodata,"a",@progbits
	.p2align	6, 0x0
	.amdhsa_kernel _Z16operation_kernelIiLj256ELj8EL23memory_operation_method3E9operationIL16kernel_operation0EiLj8ELj256EEEvPT_S5_T3_
		.amdhsa_group_segment_fixed_size 8448
		.amdhsa_private_segment_fixed_size 0
		.amdhsa_kernarg_size 20
		.amdhsa_user_sgpr_count 6
		.amdhsa_user_sgpr_private_segment_buffer 1
		.amdhsa_user_sgpr_dispatch_ptr 0
		.amdhsa_user_sgpr_queue_ptr 0
		.amdhsa_user_sgpr_kernarg_segment_ptr 1
		.amdhsa_user_sgpr_dispatch_id 0
		.amdhsa_user_sgpr_flat_scratch_init 0
		.amdhsa_user_sgpr_kernarg_preload_length 0
		.amdhsa_user_sgpr_kernarg_preload_offset 0
		.amdhsa_user_sgpr_private_segment_size 0
		.amdhsa_uses_dynamic_stack 0
		.amdhsa_system_sgpr_private_segment_wavefront_offset 0
		.amdhsa_system_sgpr_workgroup_id_x 1
		.amdhsa_system_sgpr_workgroup_id_y 0
		.amdhsa_system_sgpr_workgroup_id_z 0
		.amdhsa_system_sgpr_workgroup_info 0
		.amdhsa_system_vgpr_workitem_id 0
		.amdhsa_next_free_vgpr 22
		.amdhsa_next_free_sgpr 7
		.amdhsa_accum_offset 24
		.amdhsa_reserve_vcc 1
		.amdhsa_reserve_flat_scratch 0
		.amdhsa_float_round_mode_32 0
		.amdhsa_float_round_mode_16_64 0
		.amdhsa_float_denorm_mode_32 3
		.amdhsa_float_denorm_mode_16_64 3
		.amdhsa_dx10_clamp 1
		.amdhsa_ieee_mode 1
		.amdhsa_fp16_overflow 0
		.amdhsa_tg_split 0
		.amdhsa_exception_fp_ieee_invalid_op 0
		.amdhsa_exception_fp_denorm_src 0
		.amdhsa_exception_fp_ieee_div_zero 0
		.amdhsa_exception_fp_ieee_overflow 0
		.amdhsa_exception_fp_ieee_underflow 0
		.amdhsa_exception_fp_ieee_inexact 0
		.amdhsa_exception_int_div_zero 0
	.end_amdhsa_kernel
	.section	.text._Z16operation_kernelIiLj256ELj8EL23memory_operation_method3E9operationIL16kernel_operation0EiLj8ELj256EEEvPT_S5_T3_,"axG",@progbits,_Z16operation_kernelIiLj256ELj8EL23memory_operation_method3E9operationIL16kernel_operation0EiLj8ELj256EEEvPT_S5_T3_,comdat
.Lfunc_end15:
	.size	_Z16operation_kernelIiLj256ELj8EL23memory_operation_method3E9operationIL16kernel_operation0EiLj8ELj256EEEvPT_S5_T3_, .Lfunc_end15-_Z16operation_kernelIiLj256ELj8EL23memory_operation_method3E9operationIL16kernel_operation0EiLj8ELj256EEEvPT_S5_T3_
                                        ; -- End function
	.section	.AMDGPU.csdata,"",@progbits
; Kernel info:
; codeLenInByte = 672
; NumSgprs: 11
; NumVgprs: 22
; NumAgprs: 0
; TotalNumVgprs: 22
; ScratchSize: 0
; MemoryBound: 0
; FloatMode: 240
; IeeeMode: 1
; LDSByteSize: 8448 bytes/workgroup (compile time only)
; SGPRBlocks: 1
; VGPRBlocks: 2
; NumSGPRsForWavesPerEU: 11
; NumVGPRsForWavesPerEU: 22
; AccumOffset: 24
; Occupancy: 7
; WaveLimiterHint : 1
; COMPUTE_PGM_RSRC2:SCRATCH_EN: 0
; COMPUTE_PGM_RSRC2:USER_SGPR: 6
; COMPUTE_PGM_RSRC2:TRAP_HANDLER: 0
; COMPUTE_PGM_RSRC2:TGID_X_EN: 1
; COMPUTE_PGM_RSRC2:TGID_Y_EN: 0
; COMPUTE_PGM_RSRC2:TGID_Z_EN: 0
; COMPUTE_PGM_RSRC2:TIDIG_COMP_CNT: 0
; COMPUTE_PGM_RSRC3_GFX90A:ACCUM_OFFSET: 5
; COMPUTE_PGM_RSRC3_GFX90A:TG_SPLIT: 0
	.section	.text._Z16operation_kernelIiLj256ELj1EL23memory_operation_method4E9operationIL16kernel_operation0EiLj1ELj256EEEvPT_S5_T3_,"axG",@progbits,_Z16operation_kernelIiLj256ELj1EL23memory_operation_method4E9operationIL16kernel_operation0EiLj1ELj256EEEvPT_S5_T3_,comdat
	.protected	_Z16operation_kernelIiLj256ELj1EL23memory_operation_method4E9operationIL16kernel_operation0EiLj1ELj256EEEvPT_S5_T3_ ; -- Begin function _Z16operation_kernelIiLj256ELj1EL23memory_operation_method4E9operationIL16kernel_operation0EiLj1ELj256EEEvPT_S5_T3_
	.globl	_Z16operation_kernelIiLj256ELj1EL23memory_operation_method4E9operationIL16kernel_operation0EiLj1ELj256EEEvPT_S5_T3_
	.p2align	8
	.type	_Z16operation_kernelIiLj256ELj1EL23memory_operation_method4E9operationIL16kernel_operation0EiLj1ELj256EEEvPT_S5_T3_,@function
_Z16operation_kernelIiLj256ELj1EL23memory_operation_method4E9operationIL16kernel_operation0EiLj1ELj256EEEvPT_S5_T3_: ; @_Z16operation_kernelIiLj256ELj1EL23memory_operation_method4E9operationIL16kernel_operation0EiLj1ELj256EEEvPT_S5_T3_
; %bb.0:
	s_load_dwordx4 s[0:3], s[4:5], 0x0
	s_lshl_b32 s4, s6, 8
	s_mov_b32 s5, 0
	s_lshl_b64 s[4:5], s[4:5], 2
	v_mbcnt_lo_u32_b32 v1, -1, 0
	s_waitcnt lgkmcnt(0)
	s_add_u32 s0, s0, s4
	v_mbcnt_hi_u32_b32 v2, -1, v1
	s_addc_u32 s1, s1, s5
	v_lshlrev_b32_e32 v4, 2, v2
	v_and_b32_e32 v3, 0xc0, v0
	v_mov_b32_e32 v0, s1
	v_add_co_u32_e32 v1, vcc, s0, v4
	v_addc_co_u32_e32 v5, vcc, 0, v0, vcc
	v_lshlrev_b32_e32 v6, 2, v3
	v_add_co_u32_e32 v0, vcc, v1, v6
	v_addc_co_u32_e32 v1, vcc, 0, v5, vcc
	global_load_dword v0, v[0:1], off
	v_add_lshl_u32 v1, v2, v3, 2
	s_add_u32 s0, s2, s4
	s_addc_u32 s1, s3, s5
	v_mov_b32_e32 v2, s1
	s_waitcnt vmcnt(0)
	ds_write_b32 v1, v0
	; wave barrier
	ds_read_b32 v0, v1
	s_waitcnt lgkmcnt(0)
	s_barrier
	ds_write_b32 v1, v0
	; wave barrier
	ds_read_b32 v3, v1
	v_add_co_u32_e32 v0, vcc, s0, v4
	v_addc_co_u32_e32 v1, vcc, 0, v2, vcc
	v_add_co_u32_e32 v0, vcc, v0, v6
	v_addc_co_u32_e32 v1, vcc, 0, v1, vcc
	s_waitcnt lgkmcnt(0)
	global_store_dword v[0:1], v3, off
	s_endpgm
	.section	.rodata,"a",@progbits
	.p2align	6, 0x0
	.amdhsa_kernel _Z16operation_kernelIiLj256ELj1EL23memory_operation_method4E9operationIL16kernel_operation0EiLj1ELj256EEEvPT_S5_T3_
		.amdhsa_group_segment_fixed_size 1024
		.amdhsa_private_segment_fixed_size 0
		.amdhsa_kernarg_size 20
		.amdhsa_user_sgpr_count 6
		.amdhsa_user_sgpr_private_segment_buffer 1
		.amdhsa_user_sgpr_dispatch_ptr 0
		.amdhsa_user_sgpr_queue_ptr 0
		.amdhsa_user_sgpr_kernarg_segment_ptr 1
		.amdhsa_user_sgpr_dispatch_id 0
		.amdhsa_user_sgpr_flat_scratch_init 0
		.amdhsa_user_sgpr_kernarg_preload_length 0
		.amdhsa_user_sgpr_kernarg_preload_offset 0
		.amdhsa_user_sgpr_private_segment_size 0
		.amdhsa_uses_dynamic_stack 0
		.amdhsa_system_sgpr_private_segment_wavefront_offset 0
		.amdhsa_system_sgpr_workgroup_id_x 1
		.amdhsa_system_sgpr_workgroup_id_y 0
		.amdhsa_system_sgpr_workgroup_id_z 0
		.amdhsa_system_sgpr_workgroup_info 0
		.amdhsa_system_vgpr_workitem_id 0
		.amdhsa_next_free_vgpr 7
		.amdhsa_next_free_sgpr 7
		.amdhsa_accum_offset 8
		.amdhsa_reserve_vcc 1
		.amdhsa_reserve_flat_scratch 0
		.amdhsa_float_round_mode_32 0
		.amdhsa_float_round_mode_16_64 0
		.amdhsa_float_denorm_mode_32 3
		.amdhsa_float_denorm_mode_16_64 3
		.amdhsa_dx10_clamp 1
		.amdhsa_ieee_mode 1
		.amdhsa_fp16_overflow 0
		.amdhsa_tg_split 0
		.amdhsa_exception_fp_ieee_invalid_op 0
		.amdhsa_exception_fp_denorm_src 0
		.amdhsa_exception_fp_ieee_div_zero 0
		.amdhsa_exception_fp_ieee_overflow 0
		.amdhsa_exception_fp_ieee_underflow 0
		.amdhsa_exception_fp_ieee_inexact 0
		.amdhsa_exception_int_div_zero 0
	.end_amdhsa_kernel
	.section	.text._Z16operation_kernelIiLj256ELj1EL23memory_operation_method4E9operationIL16kernel_operation0EiLj1ELj256EEEvPT_S5_T3_,"axG",@progbits,_Z16operation_kernelIiLj256ELj1EL23memory_operation_method4E9operationIL16kernel_operation0EiLj1ELj256EEEvPT_S5_T3_,comdat
.Lfunc_end16:
	.size	_Z16operation_kernelIiLj256ELj1EL23memory_operation_method4E9operationIL16kernel_operation0EiLj1ELj256EEEvPT_S5_T3_, .Lfunc_end16-_Z16operation_kernelIiLj256ELj1EL23memory_operation_method4E9operationIL16kernel_operation0EiLj1ELj256EEEvPT_S5_T3_
                                        ; -- End function
	.section	.AMDGPU.csdata,"",@progbits
; Kernel info:
; codeLenInByte = 188
; NumSgprs: 11
; NumVgprs: 7
; NumAgprs: 0
; TotalNumVgprs: 7
; ScratchSize: 0
; MemoryBound: 0
; FloatMode: 240
; IeeeMode: 1
; LDSByteSize: 1024 bytes/workgroup (compile time only)
; SGPRBlocks: 1
; VGPRBlocks: 0
; NumSGPRsForWavesPerEU: 11
; NumVGPRsForWavesPerEU: 7
; AccumOffset: 8
; Occupancy: 8
; WaveLimiterHint : 0
; COMPUTE_PGM_RSRC2:SCRATCH_EN: 0
; COMPUTE_PGM_RSRC2:USER_SGPR: 6
; COMPUTE_PGM_RSRC2:TRAP_HANDLER: 0
; COMPUTE_PGM_RSRC2:TGID_X_EN: 1
; COMPUTE_PGM_RSRC2:TGID_Y_EN: 0
; COMPUTE_PGM_RSRC2:TGID_Z_EN: 0
; COMPUTE_PGM_RSRC2:TIDIG_COMP_CNT: 0
; COMPUTE_PGM_RSRC3_GFX90A:ACCUM_OFFSET: 1
; COMPUTE_PGM_RSRC3_GFX90A:TG_SPLIT: 0
	.section	.text._Z16operation_kernelIiLj256ELj2EL23memory_operation_method4E9operationIL16kernel_operation0EiLj2ELj256EEEvPT_S5_T3_,"axG",@progbits,_Z16operation_kernelIiLj256ELj2EL23memory_operation_method4E9operationIL16kernel_operation0EiLj2ELj256EEEvPT_S5_T3_,comdat
	.protected	_Z16operation_kernelIiLj256ELj2EL23memory_operation_method4E9operationIL16kernel_operation0EiLj2ELj256EEEvPT_S5_T3_ ; -- Begin function _Z16operation_kernelIiLj256ELj2EL23memory_operation_method4E9operationIL16kernel_operation0EiLj2ELj256EEEvPT_S5_T3_
	.globl	_Z16operation_kernelIiLj256ELj2EL23memory_operation_method4E9operationIL16kernel_operation0EiLj2ELj256EEEvPT_S5_T3_
	.p2align	8
	.type	_Z16operation_kernelIiLj256ELj2EL23memory_operation_method4E9operationIL16kernel_operation0EiLj2ELj256EEEvPT_S5_T3_,@function
_Z16operation_kernelIiLj256ELj2EL23memory_operation_method4E9operationIL16kernel_operation0EiLj2ELj256EEEvPT_S5_T3_: ; @_Z16operation_kernelIiLj256ELj2EL23memory_operation_method4E9operationIL16kernel_operation0EiLj2ELj256EEEvPT_S5_T3_
; %bb.0:
	s_load_dwordx4 s[0:3], s[4:5], 0x0
	s_lshl_b32 s4, s6, 9
	s_mov_b32 s5, 0
	s_lshl_b64 s[4:5], s[4:5], 2
	v_mbcnt_lo_u32_b32 v1, -1, 0
	s_waitcnt lgkmcnt(0)
	s_add_u32 s0, s0, s4
	v_mbcnt_hi_u32_b32 v1, -1, v1
	s_addc_u32 s1, s1, s5
	v_lshlrev_b32_e32 v2, 1, v0
	v_lshlrev_b32_e32 v5, 2, v1
	v_and_b32_e32 v4, 0x180, v2
	v_mov_b32_e32 v2, s1
	v_add_co_u32_e32 v3, vcc, s0, v5
	v_addc_co_u32_e32 v6, vcc, 0, v2, vcc
	v_lshlrev_b32_e32 v7, 2, v4
	v_add_co_u32_e32 v2, vcc, v3, v7
	v_addc_co_u32_e32 v3, vcc, 0, v6, vcc
	global_load_dword v6, v[2:3], off
	global_load_dword v8, v[2:3], off offset:256
	v_and_b32_e32 v0, 0xc0, v0
	v_add_u32_e32 v0, v1, v0
	v_or_b32_e32 v1, v1, v4
	v_lshlrev_b32_e32 v2, 1, v0
	v_bfe_u32 v0, v0, 4, 27
	v_lshrrev_b32_e32 v3, 5, v1
	v_add_u32_e32 v4, 64, v1
	v_add_lshl_u32 v2, v0, v2, 2
	v_add_lshl_u32 v3, v3, v1, 2
	v_lshrrev_b32_e32 v0, 5, v4
	v_add_lshl_u32 v4, v0, v4, 2
	s_add_u32 s0, s2, s4
	s_addc_u32 s1, s3, s5
	v_mov_b32_e32 v9, s1
	v_add_co_u32_e32 v5, vcc, s0, v5
	s_waitcnt vmcnt(1)
	ds_write_b32 v3, v6
	s_waitcnt vmcnt(0)
	ds_write_b32 v4, v8
	; wave barrier
	ds_read2_b32 v[0:1], v2 offset1:1
	s_waitcnt lgkmcnt(0)
	s_barrier
	v_addc_co_u32_e32 v6, vcc, 0, v9, vcc
	ds_write2_b32 v2, v0, v1 offset1:1
	; wave barrier
	ds_read_b32 v2, v3
	ds_read_b32 v3, v4
	v_add_co_u32_e32 v0, vcc, v5, v7
	v_addc_co_u32_e32 v1, vcc, 0, v6, vcc
	s_waitcnt lgkmcnt(1)
	global_store_dword v[0:1], v2, off
	s_waitcnt lgkmcnt(0)
	global_store_dword v[0:1], v3, off offset:256
	s_endpgm
	.section	.rodata,"a",@progbits
	.p2align	6, 0x0
	.amdhsa_kernel _Z16operation_kernelIiLj256ELj2EL23memory_operation_method4E9operationIL16kernel_operation0EiLj2ELj256EEEvPT_S5_T3_
		.amdhsa_group_segment_fixed_size 2112
		.amdhsa_private_segment_fixed_size 0
		.amdhsa_kernarg_size 20
		.amdhsa_user_sgpr_count 6
		.amdhsa_user_sgpr_private_segment_buffer 1
		.amdhsa_user_sgpr_dispatch_ptr 0
		.amdhsa_user_sgpr_queue_ptr 0
		.amdhsa_user_sgpr_kernarg_segment_ptr 1
		.amdhsa_user_sgpr_dispatch_id 0
		.amdhsa_user_sgpr_flat_scratch_init 0
		.amdhsa_user_sgpr_kernarg_preload_length 0
		.amdhsa_user_sgpr_kernarg_preload_offset 0
		.amdhsa_user_sgpr_private_segment_size 0
		.amdhsa_uses_dynamic_stack 0
		.amdhsa_system_sgpr_private_segment_wavefront_offset 0
		.amdhsa_system_sgpr_workgroup_id_x 1
		.amdhsa_system_sgpr_workgroup_id_y 0
		.amdhsa_system_sgpr_workgroup_id_z 0
		.amdhsa_system_sgpr_workgroup_info 0
		.amdhsa_system_vgpr_workitem_id 0
		.amdhsa_next_free_vgpr 10
		.amdhsa_next_free_sgpr 7
		.amdhsa_accum_offset 12
		.amdhsa_reserve_vcc 1
		.amdhsa_reserve_flat_scratch 0
		.amdhsa_float_round_mode_32 0
		.amdhsa_float_round_mode_16_64 0
		.amdhsa_float_denorm_mode_32 3
		.amdhsa_float_denorm_mode_16_64 3
		.amdhsa_dx10_clamp 1
		.amdhsa_ieee_mode 1
		.amdhsa_fp16_overflow 0
		.amdhsa_tg_split 0
		.amdhsa_exception_fp_ieee_invalid_op 0
		.amdhsa_exception_fp_denorm_src 0
		.amdhsa_exception_fp_ieee_div_zero 0
		.amdhsa_exception_fp_ieee_overflow 0
		.amdhsa_exception_fp_ieee_underflow 0
		.amdhsa_exception_fp_ieee_inexact 0
		.amdhsa_exception_int_div_zero 0
	.end_amdhsa_kernel
	.section	.text._Z16operation_kernelIiLj256ELj2EL23memory_operation_method4E9operationIL16kernel_operation0EiLj2ELj256EEEvPT_S5_T3_,"axG",@progbits,_Z16operation_kernelIiLj256ELj2EL23memory_operation_method4E9operationIL16kernel_operation0EiLj2ELj256EEEvPT_S5_T3_,comdat
.Lfunc_end17:
	.size	_Z16operation_kernelIiLj256ELj2EL23memory_operation_method4E9operationIL16kernel_operation0EiLj2ELj256EEEvPT_S5_T3_, .Lfunc_end17-_Z16operation_kernelIiLj256ELj2EL23memory_operation_method4E9operationIL16kernel_operation0EiLj2ELj256EEEvPT_S5_T3_
                                        ; -- End function
	.section	.AMDGPU.csdata,"",@progbits
; Kernel info:
; codeLenInByte = 288
; NumSgprs: 11
; NumVgprs: 10
; NumAgprs: 0
; TotalNumVgprs: 10
; ScratchSize: 0
; MemoryBound: 0
; FloatMode: 240
; IeeeMode: 1
; LDSByteSize: 2112 bytes/workgroup (compile time only)
; SGPRBlocks: 1
; VGPRBlocks: 1
; NumSGPRsForWavesPerEU: 11
; NumVGPRsForWavesPerEU: 10
; AccumOffset: 12
; Occupancy: 8
; WaveLimiterHint : 1
; COMPUTE_PGM_RSRC2:SCRATCH_EN: 0
; COMPUTE_PGM_RSRC2:USER_SGPR: 6
; COMPUTE_PGM_RSRC2:TRAP_HANDLER: 0
; COMPUTE_PGM_RSRC2:TGID_X_EN: 1
; COMPUTE_PGM_RSRC2:TGID_Y_EN: 0
; COMPUTE_PGM_RSRC2:TGID_Z_EN: 0
; COMPUTE_PGM_RSRC2:TIDIG_COMP_CNT: 0
; COMPUTE_PGM_RSRC3_GFX90A:ACCUM_OFFSET: 2
; COMPUTE_PGM_RSRC3_GFX90A:TG_SPLIT: 0
	.section	.text._Z16operation_kernelIiLj256ELj4EL23memory_operation_method4E9operationIL16kernel_operation0EiLj4ELj256EEEvPT_S5_T3_,"axG",@progbits,_Z16operation_kernelIiLj256ELj4EL23memory_operation_method4E9operationIL16kernel_operation0EiLj4ELj256EEEvPT_S5_T3_,comdat
	.protected	_Z16operation_kernelIiLj256ELj4EL23memory_operation_method4E9operationIL16kernel_operation0EiLj4ELj256EEEvPT_S5_T3_ ; -- Begin function _Z16operation_kernelIiLj256ELj4EL23memory_operation_method4E9operationIL16kernel_operation0EiLj4ELj256EEEvPT_S5_T3_
	.globl	_Z16operation_kernelIiLj256ELj4EL23memory_operation_method4E9operationIL16kernel_operation0EiLj4ELj256EEEvPT_S5_T3_
	.p2align	8
	.type	_Z16operation_kernelIiLj256ELj4EL23memory_operation_method4E9operationIL16kernel_operation0EiLj4ELj256EEEvPT_S5_T3_,@function
_Z16operation_kernelIiLj256ELj4EL23memory_operation_method4E9operationIL16kernel_operation0EiLj4ELj256EEEvPT_S5_T3_: ; @_Z16operation_kernelIiLj256ELj4EL23memory_operation_method4E9operationIL16kernel_operation0EiLj4ELj256EEEvPT_S5_T3_
; %bb.0:
	s_load_dwordx4 s[0:3], s[4:5], 0x0
	s_lshl_b32 s4, s6, 10
	s_mov_b32 s5, 0
	s_lshl_b64 s[4:5], s[4:5], 2
	v_mbcnt_lo_u32_b32 v1, -1, 0
	s_waitcnt lgkmcnt(0)
	s_add_u32 s0, s0, s4
	v_mbcnt_hi_u32_b32 v1, -1, v1
	s_addc_u32 s1, s1, s5
	v_lshlrev_b32_e32 v2, 2, v0
	v_lshlrev_b32_e32 v5, 2, v1
	v_and_b32_e32 v4, 0x300, v2
	v_mov_b32_e32 v2, s1
	v_add_co_u32_e32 v3, vcc, s0, v5
	v_addc_co_u32_e32 v6, vcc, 0, v2, vcc
	v_lshlrev_b32_e32 v7, 2, v4
	v_add_co_u32_e32 v2, vcc, v3, v7
	v_addc_co_u32_e32 v3, vcc, 0, v6, vcc
	global_load_dword v6, v[2:3], off
	global_load_dword v8, v[2:3], off offset:256
	global_load_dword v9, v[2:3], off offset:512
	global_load_dword v10, v[2:3], off offset:768
	v_and_b32_e32 v0, 0xc0, v0
	v_add_u32_e32 v0, v1, v0
	v_or_b32_e32 v1, v1, v4
	v_lshlrev_b32_e32 v2, 2, v0
	v_bfe_u32 v0, v0, 3, 27
	v_add_u32_e32 v4, 64, v1
	s_add_u32 s0, s2, s4
	v_lshrrev_b32_e32 v3, 5, v1
	v_or_b32_e32 v11, 0x80, v1
	v_add_u32_e32 v12, 0xc0, v1
	v_add_lshl_u32 v13, v0, v2, 2
	v_lshrrev_b32_e32 v0, 5, v4
	s_addc_u32 s1, s3, s5
	v_add_lshl_u32 v14, v3, v1, 2
	v_lshrrev_b32_e32 v1, 5, v11
	v_lshrrev_b32_e32 v2, 5, v12
	v_add_lshl_u32 v4, v0, v4, 2
	v_mov_b32_e32 v0, s1
	v_add_co_u32_e32 v5, vcc, s0, v5
	v_add_lshl_u32 v11, v1, v11, 2
	v_add_lshl_u32 v12, v2, v12, 2
	v_addc_co_u32_e32 v15, vcc, 0, v0, vcc
	s_waitcnt vmcnt(3)
	ds_write_b32 v14, v6
	s_waitcnt vmcnt(2)
	ds_write_b32 v4, v8
	;; [unrolled: 2-line block ×4, first 2 shown]
	; wave barrier
	ds_read2_b32 v[0:1], v13 offset1:1
	ds_read2_b32 v[2:3], v13 offset0:2 offset1:3
	s_waitcnt lgkmcnt(0)
	s_barrier
	ds_write2_b32 v13, v0, v1 offset1:1
	ds_write2_b32 v13, v2, v3 offset0:2 offset1:3
	; wave barrier
	ds_read_b32 v2, v14
	ds_read_b32 v3, v4
	;; [unrolled: 1-line block ×4, first 2 shown]
	v_add_co_u32_e32 v0, vcc, v5, v7
	v_addc_co_u32_e32 v1, vcc, 0, v15, vcc
	s_waitcnt lgkmcnt(3)
	global_store_dword v[0:1], v2, off
	s_waitcnt lgkmcnt(2)
	global_store_dword v[0:1], v3, off offset:256
	s_waitcnt lgkmcnt(1)
	global_store_dword v[0:1], v4, off offset:512
	s_waitcnt lgkmcnt(0)
	global_store_dword v[0:1], v6, off offset:768
	s_endpgm
	.section	.rodata,"a",@progbits
	.p2align	6, 0x0
	.amdhsa_kernel _Z16operation_kernelIiLj256ELj4EL23memory_operation_method4E9operationIL16kernel_operation0EiLj4ELj256EEEvPT_S5_T3_
		.amdhsa_group_segment_fixed_size 4224
		.amdhsa_private_segment_fixed_size 0
		.amdhsa_kernarg_size 20
		.amdhsa_user_sgpr_count 6
		.amdhsa_user_sgpr_private_segment_buffer 1
		.amdhsa_user_sgpr_dispatch_ptr 0
		.amdhsa_user_sgpr_queue_ptr 0
		.amdhsa_user_sgpr_kernarg_segment_ptr 1
		.amdhsa_user_sgpr_dispatch_id 0
		.amdhsa_user_sgpr_flat_scratch_init 0
		.amdhsa_user_sgpr_kernarg_preload_length 0
		.amdhsa_user_sgpr_kernarg_preload_offset 0
		.amdhsa_user_sgpr_private_segment_size 0
		.amdhsa_uses_dynamic_stack 0
		.amdhsa_system_sgpr_private_segment_wavefront_offset 0
		.amdhsa_system_sgpr_workgroup_id_x 1
		.amdhsa_system_sgpr_workgroup_id_y 0
		.amdhsa_system_sgpr_workgroup_id_z 0
		.amdhsa_system_sgpr_workgroup_info 0
		.amdhsa_system_vgpr_workitem_id 0
		.amdhsa_next_free_vgpr 16
		.amdhsa_next_free_sgpr 7
		.amdhsa_accum_offset 16
		.amdhsa_reserve_vcc 1
		.amdhsa_reserve_flat_scratch 0
		.amdhsa_float_round_mode_32 0
		.amdhsa_float_round_mode_16_64 0
		.amdhsa_float_denorm_mode_32 3
		.amdhsa_float_denorm_mode_16_64 3
		.amdhsa_dx10_clamp 1
		.amdhsa_ieee_mode 1
		.amdhsa_fp16_overflow 0
		.amdhsa_tg_split 0
		.amdhsa_exception_fp_ieee_invalid_op 0
		.amdhsa_exception_fp_denorm_src 0
		.amdhsa_exception_fp_ieee_div_zero 0
		.amdhsa_exception_fp_ieee_overflow 0
		.amdhsa_exception_fp_ieee_underflow 0
		.amdhsa_exception_fp_ieee_inexact 0
		.amdhsa_exception_int_div_zero 0
	.end_amdhsa_kernel
	.section	.text._Z16operation_kernelIiLj256ELj4EL23memory_operation_method4E9operationIL16kernel_operation0EiLj4ELj256EEEvPT_S5_T3_,"axG",@progbits,_Z16operation_kernelIiLj256ELj4EL23memory_operation_method4E9operationIL16kernel_operation0EiLj4ELj256EEEvPT_S5_T3_,comdat
.Lfunc_end18:
	.size	_Z16operation_kernelIiLj256ELj4EL23memory_operation_method4E9operationIL16kernel_operation0EiLj4ELj256EEEvPT_S5_T3_, .Lfunc_end18-_Z16operation_kernelIiLj256ELj4EL23memory_operation_method4E9operationIL16kernel_operation0EiLj4ELj256EEEvPT_S5_T3_
                                        ; -- End function
	.section	.AMDGPU.csdata,"",@progbits
; Kernel info:
; codeLenInByte = 424
; NumSgprs: 11
; NumVgprs: 16
; NumAgprs: 0
; TotalNumVgprs: 16
; ScratchSize: 0
; MemoryBound: 0
; FloatMode: 240
; IeeeMode: 1
; LDSByteSize: 4224 bytes/workgroup (compile time only)
; SGPRBlocks: 1
; VGPRBlocks: 1
; NumSGPRsForWavesPerEU: 11
; NumVGPRsForWavesPerEU: 16
; AccumOffset: 16
; Occupancy: 8
; WaveLimiterHint : 1
; COMPUTE_PGM_RSRC2:SCRATCH_EN: 0
; COMPUTE_PGM_RSRC2:USER_SGPR: 6
; COMPUTE_PGM_RSRC2:TRAP_HANDLER: 0
; COMPUTE_PGM_RSRC2:TGID_X_EN: 1
; COMPUTE_PGM_RSRC2:TGID_Y_EN: 0
; COMPUTE_PGM_RSRC2:TGID_Z_EN: 0
; COMPUTE_PGM_RSRC2:TIDIG_COMP_CNT: 0
; COMPUTE_PGM_RSRC3_GFX90A:ACCUM_OFFSET: 3
; COMPUTE_PGM_RSRC3_GFX90A:TG_SPLIT: 0
	.section	.text._Z16operation_kernelIiLj256ELj8EL23memory_operation_method4E9operationIL16kernel_operation0EiLj8ELj256EEEvPT_S5_T3_,"axG",@progbits,_Z16operation_kernelIiLj256ELj8EL23memory_operation_method4E9operationIL16kernel_operation0EiLj8ELj256EEEvPT_S5_T3_,comdat
	.protected	_Z16operation_kernelIiLj256ELj8EL23memory_operation_method4E9operationIL16kernel_operation0EiLj8ELj256EEEvPT_S5_T3_ ; -- Begin function _Z16operation_kernelIiLj256ELj8EL23memory_operation_method4E9operationIL16kernel_operation0EiLj8ELj256EEEvPT_S5_T3_
	.globl	_Z16operation_kernelIiLj256ELj8EL23memory_operation_method4E9operationIL16kernel_operation0EiLj8ELj256EEEvPT_S5_T3_
	.p2align	8
	.type	_Z16operation_kernelIiLj256ELj8EL23memory_operation_method4E9operationIL16kernel_operation0EiLj8ELj256EEEvPT_S5_T3_,@function
_Z16operation_kernelIiLj256ELj8EL23memory_operation_method4E9operationIL16kernel_operation0EiLj8ELj256EEEvPT_S5_T3_: ; @_Z16operation_kernelIiLj256ELj8EL23memory_operation_method4E9operationIL16kernel_operation0EiLj8ELj256EEEvPT_S5_T3_
; %bb.0:
	s_load_dwordx4 s[0:3], s[4:5], 0x0
	s_lshl_b32 s4, s6, 11
	s_mov_b32 s5, 0
	s_lshl_b64 s[4:5], s[4:5], 2
	v_mbcnt_lo_u32_b32 v1, -1, 0
	s_waitcnt lgkmcnt(0)
	s_add_u32 s0, s0, s4
	v_mbcnt_hi_u32_b32 v1, -1, v1
	s_addc_u32 s1, s1, s5
	v_lshlrev_b32_e32 v2, 3, v0
	v_lshlrev_b32_e32 v8, 2, v1
	v_and_b32_e32 v4, 0x600, v2
	v_mov_b32_e32 v2, s1
	v_add_co_u32_e32 v3, vcc, s0, v8
	v_addc_co_u32_e32 v5, vcc, 0, v2, vcc
	v_lshlrev_b32_e32 v9, 2, v4
	v_add_co_u32_e32 v2, vcc, v3, v9
	v_addc_co_u32_e32 v3, vcc, 0, v5, vcc
	global_load_dword v5, v[2:3], off
	global_load_dword v6, v[2:3], off offset:256
	global_load_dword v7, v[2:3], off offset:512
	;; [unrolled: 1-line block ×7, first 2 shown]
	v_and_b32_e32 v0, 0xc0, v0
	v_add_u32_e32 v0, v1, v0
	v_or_b32_e32 v1, v1, v4
	v_lshlrev_b32_e32 v2, 3, v0
	v_bfe_u32 v0, v0, 2, 27
	v_lshrrev_b32_e32 v3, 5, v1
	v_add_u32_e32 v4, 64, v1
	v_or_b32_e32 v15, 0x80, v1
	v_add_u32_e32 v16, 0xc0, v1
	v_or_b32_e32 v17, 0x100, v1
	;; [unrolled: 2-line block ×3, first 2 shown]
	v_add_u32_e32 v20, 0x1c0, v1
	v_add_lshl_u32 v21, v0, v2, 2
	v_add_lshl_u32 v22, v3, v1, 2
	v_lshrrev_b32_e32 v0, 5, v4
	v_lshrrev_b32_e32 v1, 5, v15
	;; [unrolled: 1-line block ×7, first 2 shown]
	v_add_lshl_u32 v26, v0, v4, 2
	v_add_lshl_u32 v15, v1, v15, 2
	;; [unrolled: 1-line block ×7, first 2 shown]
	s_add_u32 s0, s2, s4
	s_addc_u32 s1, s3, s5
	v_mov_b32_e32 v23, s1
	s_waitcnt vmcnt(7)
	ds_write_b32 v22, v5
	s_waitcnt vmcnt(6)
	ds_write_b32 v26, v6
	;; [unrolled: 2-line block ×8, first 2 shown]
	; wave barrier
	ds_read2_b32 v[0:1], v21 offset1:1
	ds_read2_b32 v[2:3], v21 offset0:2 offset1:3
	ds_read2_b32 v[4:5], v21 offset0:4 offset1:5
	ds_read2_b32 v[6:7], v21 offset0:6 offset1:7
	s_waitcnt lgkmcnt(0)
	s_barrier
	ds_write2_b32 v21, v0, v1 offset1:1
	ds_write2_b32 v21, v2, v3 offset0:2 offset1:3
	ds_write2_b32 v21, v4, v5 offset0:4 offset1:5
	;; [unrolled: 1-line block ×3, first 2 shown]
	; wave barrier
	ds_read_b32 v2, v22
	ds_read_b32 v3, v26
	;; [unrolled: 1-line block ×8, first 2 shown]
	v_add_co_u32_e32 v0, vcc, s0, v8
	v_addc_co_u32_e32 v1, vcc, 0, v23, vcc
	v_add_co_u32_e32 v0, vcc, v0, v9
	v_addc_co_u32_e32 v1, vcc, 0, v1, vcc
	s_waitcnt lgkmcnt(7)
	global_store_dword v[0:1], v2, off
	s_waitcnt lgkmcnt(6)
	global_store_dword v[0:1], v3, off offset:256
	s_waitcnt lgkmcnt(5)
	global_store_dword v[0:1], v4, off offset:512
	;; [unrolled: 2-line block ×7, first 2 shown]
	s_endpgm
	.section	.rodata,"a",@progbits
	.p2align	6, 0x0
	.amdhsa_kernel _Z16operation_kernelIiLj256ELj8EL23memory_operation_method4E9operationIL16kernel_operation0EiLj8ELj256EEEvPT_S5_T3_
		.amdhsa_group_segment_fixed_size 8448
		.amdhsa_private_segment_fixed_size 0
		.amdhsa_kernarg_size 20
		.amdhsa_user_sgpr_count 6
		.amdhsa_user_sgpr_private_segment_buffer 1
		.amdhsa_user_sgpr_dispatch_ptr 0
		.amdhsa_user_sgpr_queue_ptr 0
		.amdhsa_user_sgpr_kernarg_segment_ptr 1
		.amdhsa_user_sgpr_dispatch_id 0
		.amdhsa_user_sgpr_flat_scratch_init 0
		.amdhsa_user_sgpr_kernarg_preload_length 0
		.amdhsa_user_sgpr_kernarg_preload_offset 0
		.amdhsa_user_sgpr_private_segment_size 0
		.amdhsa_uses_dynamic_stack 0
		.amdhsa_system_sgpr_private_segment_wavefront_offset 0
		.amdhsa_system_sgpr_workgroup_id_x 1
		.amdhsa_system_sgpr_workgroup_id_y 0
		.amdhsa_system_sgpr_workgroup_id_z 0
		.amdhsa_system_sgpr_workgroup_info 0
		.amdhsa_system_vgpr_workitem_id 0
		.amdhsa_next_free_vgpr 27
		.amdhsa_next_free_sgpr 7
		.amdhsa_accum_offset 28
		.amdhsa_reserve_vcc 1
		.amdhsa_reserve_flat_scratch 0
		.amdhsa_float_round_mode_32 0
		.amdhsa_float_round_mode_16_64 0
		.amdhsa_float_denorm_mode_32 3
		.amdhsa_float_denorm_mode_16_64 3
		.amdhsa_dx10_clamp 1
		.amdhsa_ieee_mode 1
		.amdhsa_fp16_overflow 0
		.amdhsa_tg_split 0
		.amdhsa_exception_fp_ieee_invalid_op 0
		.amdhsa_exception_fp_denorm_src 0
		.amdhsa_exception_fp_ieee_div_zero 0
		.amdhsa_exception_fp_ieee_overflow 0
		.amdhsa_exception_fp_ieee_underflow 0
		.amdhsa_exception_fp_ieee_inexact 0
		.amdhsa_exception_int_div_zero 0
	.end_amdhsa_kernel
	.section	.text._Z16operation_kernelIiLj256ELj8EL23memory_operation_method4E9operationIL16kernel_operation0EiLj8ELj256EEEvPT_S5_T3_,"axG",@progbits,_Z16operation_kernelIiLj256ELj8EL23memory_operation_method4E9operationIL16kernel_operation0EiLj8ELj256EEEvPT_S5_T3_,comdat
.Lfunc_end19:
	.size	_Z16operation_kernelIiLj256ELj8EL23memory_operation_method4E9operationIL16kernel_operation0EiLj8ELj256EEEvPT_S5_T3_, .Lfunc_end19-_Z16operation_kernelIiLj256ELj8EL23memory_operation_method4E9operationIL16kernel_operation0EiLj8ELj256EEEvPT_S5_T3_
                                        ; -- End function
	.section	.AMDGPU.csdata,"",@progbits
; Kernel info:
; codeLenInByte = 696
; NumSgprs: 11
; NumVgprs: 27
; NumAgprs: 0
; TotalNumVgprs: 27
; ScratchSize: 0
; MemoryBound: 0
; FloatMode: 240
; IeeeMode: 1
; LDSByteSize: 8448 bytes/workgroup (compile time only)
; SGPRBlocks: 1
; VGPRBlocks: 3
; NumSGPRsForWavesPerEU: 11
; NumVGPRsForWavesPerEU: 27
; AccumOffset: 28
; Occupancy: 7
; WaveLimiterHint : 1
; COMPUTE_PGM_RSRC2:SCRATCH_EN: 0
; COMPUTE_PGM_RSRC2:USER_SGPR: 6
; COMPUTE_PGM_RSRC2:TRAP_HANDLER: 0
; COMPUTE_PGM_RSRC2:TGID_X_EN: 1
; COMPUTE_PGM_RSRC2:TGID_Y_EN: 0
; COMPUTE_PGM_RSRC2:TGID_Z_EN: 0
; COMPUTE_PGM_RSRC2:TIDIG_COMP_CNT: 0
; COMPUTE_PGM_RSRC3_GFX90A:ACCUM_OFFSET: 6
; COMPUTE_PGM_RSRC3_GFX90A:TG_SPLIT: 0
	.section	.text._Z16operation_kernelIiLj256ELj1EL23memory_operation_method0E9operationIL16kernel_operation1EiLj1ELj256EEEvPT_S5_T3_,"axG",@progbits,_Z16operation_kernelIiLj256ELj1EL23memory_operation_method0E9operationIL16kernel_operation1EiLj1ELj256EEEvPT_S5_T3_,comdat
	.protected	_Z16operation_kernelIiLj256ELj1EL23memory_operation_method0E9operationIL16kernel_operation1EiLj1ELj256EEEvPT_S5_T3_ ; -- Begin function _Z16operation_kernelIiLj256ELj1EL23memory_operation_method0E9operationIL16kernel_operation1EiLj1ELj256EEEvPT_S5_T3_
	.globl	_Z16operation_kernelIiLj256ELj1EL23memory_operation_method0E9operationIL16kernel_operation1EiLj1ELj256EEEvPT_S5_T3_
	.p2align	8
	.type	_Z16operation_kernelIiLj256ELj1EL23memory_operation_method0E9operationIL16kernel_operation1EiLj1ELj256EEEvPT_S5_T3_,@function
_Z16operation_kernelIiLj256ELj1EL23memory_operation_method0E9operationIL16kernel_operation1EiLj1ELj256EEEvPT_S5_T3_: ; @_Z16operation_kernelIiLj256ELj1EL23memory_operation_method0E9operationIL16kernel_operation1EiLj1ELj256EEEvPT_S5_T3_
; %bb.0:
	s_load_dwordx4 s[0:3], s[4:5], 0x0
	s_lshl_b32 s4, s6, 8
	s_mov_b32 s5, 0
	s_lshl_b64 s[4:5], s[4:5], 2
	v_lshlrev_b32_e32 v1, 2, v0
	s_waitcnt lgkmcnt(0)
	s_add_u32 s0, s0, s4
	s_addc_u32 s1, s1, s5
	global_load_dword v4, v1, s[0:1]
	v_mbcnt_lo_u32_b32 v2, -1, 0
	v_mbcnt_hi_u32_b32 v2, -1, v2
	v_and_b32_e32 v6, 15, v2
	v_cmp_ne_u32_e32 vcc, 0, v6
	v_bfe_i32 v7, v2, 4, 1
	v_or_b32_e32 v5, 63, v0
	v_lshrrev_b32_e32 v3, 6, v0
	s_barrier
	s_waitcnt vmcnt(0)
	v_mov_b32_dpp v8, v4 row_shr:1 row_mask:0xf bank_mask:0xf
	v_cndmask_b32_e32 v8, 0, v8, vcc
	v_add_u32_e32 v4, v8, v4
	v_cmp_lt_u32_e32 vcc, 1, v6
	s_nop 0
	v_mov_b32_dpp v8, v4 row_shr:2 row_mask:0xf bank_mask:0xf
	v_cndmask_b32_e32 v8, 0, v8, vcc
	v_add_u32_e32 v4, v4, v8
	v_cmp_lt_u32_e32 vcc, 3, v6
	s_nop 0
	;; [unrolled: 5-line block ×4, first 2 shown]
	v_mov_b32_dpp v6, v4 row_bcast:15 row_mask:0xf bank_mask:0xf
	v_and_b32_e32 v6, v7, v6
	v_add_u32_e32 v4, v4, v6
	s_nop 1
	v_mov_b32_dpp v6, v4 row_bcast:31 row_mask:0xf bank_mask:0xf
	v_cndmask_b32_e32 v6, 0, v6, vcc
	v_add_u32_e32 v4, v4, v6
	v_cmp_eq_u32_e32 vcc, v5, v0
	s_and_saveexec_b64 s[0:1], vcc
	s_cbranch_execz .LBB20_2
; %bb.1:
	v_lshlrev_b32_e32 v5, 2, v3
	ds_write_b32 v5, v4
.LBB20_2:
	s_or_b64 exec, exec, s[0:1]
	v_cmp_gt_u32_e32 vcc, 4, v0
	s_waitcnt lgkmcnt(0)
	s_barrier
	s_and_saveexec_b64 s[0:1], vcc
	s_cbranch_execz .LBB20_4
; %bb.3:
	ds_read_b32 v5, v1
	v_and_b32_e32 v2, 3, v2
	v_cmp_ne_u32_e32 vcc, 0, v2
	s_waitcnt lgkmcnt(0)
	v_mov_b32_dpp v6, v5 row_shr:1 row_mask:0xf bank_mask:0xf
	v_cndmask_b32_e32 v6, 0, v6, vcc
	v_add_u32_e32 v5, v6, v5
	v_cmp_lt_u32_e32 vcc, 1, v2
	s_nop 0
	v_mov_b32_dpp v6, v5 row_shr:2 row_mask:0xf bank_mask:0xf
	v_cndmask_b32_e32 v2, 0, v6, vcc
	v_add_u32_e32 v2, v5, v2
	ds_write_b32 v1, v2
.LBB20_4:
	s_or_b64 exec, exec, s[0:1]
	v_cmp_lt_u32_e32 vcc, 63, v0
	s_waitcnt lgkmcnt(0)
	s_barrier
	s_and_saveexec_b64 s[0:1], vcc
	s_cbranch_execz .LBB20_6
; %bb.5:
	v_lshl_add_u32 v0, v3, 2, -4
	ds_read_b32 v0, v0
	s_waitcnt lgkmcnt(0)
	v_add_u32_e32 v4, v0, v4
.LBB20_6:
	s_or_b64 exec, exec, s[0:1]
	s_add_u32 s0, s2, s4
	s_addc_u32 s1, s3, s5
	s_barrier
	global_store_dword v1, v4, s[0:1]
	s_endpgm
	.section	.rodata,"a",@progbits
	.p2align	6, 0x0
	.amdhsa_kernel _Z16operation_kernelIiLj256ELj1EL23memory_operation_method0E9operationIL16kernel_operation1EiLj1ELj256EEEvPT_S5_T3_
		.amdhsa_group_segment_fixed_size 16
		.amdhsa_private_segment_fixed_size 0
		.amdhsa_kernarg_size 20
		.amdhsa_user_sgpr_count 6
		.amdhsa_user_sgpr_private_segment_buffer 1
		.amdhsa_user_sgpr_dispatch_ptr 0
		.amdhsa_user_sgpr_queue_ptr 0
		.amdhsa_user_sgpr_kernarg_segment_ptr 1
		.amdhsa_user_sgpr_dispatch_id 0
		.amdhsa_user_sgpr_flat_scratch_init 0
		.amdhsa_user_sgpr_kernarg_preload_length 0
		.amdhsa_user_sgpr_kernarg_preload_offset 0
		.amdhsa_user_sgpr_private_segment_size 0
		.amdhsa_uses_dynamic_stack 0
		.amdhsa_system_sgpr_private_segment_wavefront_offset 0
		.amdhsa_system_sgpr_workgroup_id_x 1
		.amdhsa_system_sgpr_workgroup_id_y 0
		.amdhsa_system_sgpr_workgroup_id_z 0
		.amdhsa_system_sgpr_workgroup_info 0
		.amdhsa_system_vgpr_workitem_id 0
		.amdhsa_next_free_vgpr 9
		.amdhsa_next_free_sgpr 7
		.amdhsa_accum_offset 12
		.amdhsa_reserve_vcc 1
		.amdhsa_reserve_flat_scratch 0
		.amdhsa_float_round_mode_32 0
		.amdhsa_float_round_mode_16_64 0
		.amdhsa_float_denorm_mode_32 3
		.amdhsa_float_denorm_mode_16_64 3
		.amdhsa_dx10_clamp 1
		.amdhsa_ieee_mode 1
		.amdhsa_fp16_overflow 0
		.amdhsa_tg_split 0
		.amdhsa_exception_fp_ieee_invalid_op 0
		.amdhsa_exception_fp_denorm_src 0
		.amdhsa_exception_fp_ieee_div_zero 0
		.amdhsa_exception_fp_ieee_overflow 0
		.amdhsa_exception_fp_ieee_underflow 0
		.amdhsa_exception_fp_ieee_inexact 0
		.amdhsa_exception_int_div_zero 0
	.end_amdhsa_kernel
	.section	.text._Z16operation_kernelIiLj256ELj1EL23memory_operation_method0E9operationIL16kernel_operation1EiLj1ELj256EEEvPT_S5_T3_,"axG",@progbits,_Z16operation_kernelIiLj256ELj1EL23memory_operation_method0E9operationIL16kernel_operation1EiLj1ELj256EEEvPT_S5_T3_,comdat
.Lfunc_end20:
	.size	_Z16operation_kernelIiLj256ELj1EL23memory_operation_method0E9operationIL16kernel_operation1EiLj1ELj256EEEvPT_S5_T3_, .Lfunc_end20-_Z16operation_kernelIiLj256ELj1EL23memory_operation_method0E9operationIL16kernel_operation1EiLj1ELj256EEEvPT_S5_T3_
                                        ; -- End function
	.section	.AMDGPU.csdata,"",@progbits
; Kernel info:
; codeLenInByte = 416
; NumSgprs: 11
; NumVgprs: 9
; NumAgprs: 0
; TotalNumVgprs: 9
; ScratchSize: 0
; MemoryBound: 0
; FloatMode: 240
; IeeeMode: 1
; LDSByteSize: 16 bytes/workgroup (compile time only)
; SGPRBlocks: 1
; VGPRBlocks: 1
; NumSGPRsForWavesPerEU: 11
; NumVGPRsForWavesPerEU: 9
; AccumOffset: 12
; Occupancy: 8
; WaveLimiterHint : 0
; COMPUTE_PGM_RSRC2:SCRATCH_EN: 0
; COMPUTE_PGM_RSRC2:USER_SGPR: 6
; COMPUTE_PGM_RSRC2:TRAP_HANDLER: 0
; COMPUTE_PGM_RSRC2:TGID_X_EN: 1
; COMPUTE_PGM_RSRC2:TGID_Y_EN: 0
; COMPUTE_PGM_RSRC2:TGID_Z_EN: 0
; COMPUTE_PGM_RSRC2:TIDIG_COMP_CNT: 0
; COMPUTE_PGM_RSRC3_GFX90A:ACCUM_OFFSET: 2
; COMPUTE_PGM_RSRC3_GFX90A:TG_SPLIT: 0
	.section	.text._Z16operation_kernelIiLj256ELj2EL23memory_operation_method0E9operationIL16kernel_operation1EiLj2ELj256EEEvPT_S5_T3_,"axG",@progbits,_Z16operation_kernelIiLj256ELj2EL23memory_operation_method0E9operationIL16kernel_operation1EiLj2ELj256EEEvPT_S5_T3_,comdat
	.protected	_Z16operation_kernelIiLj256ELj2EL23memory_operation_method0E9operationIL16kernel_operation1EiLj2ELj256EEEvPT_S5_T3_ ; -- Begin function _Z16operation_kernelIiLj256ELj2EL23memory_operation_method0E9operationIL16kernel_operation1EiLj2ELj256EEEvPT_S5_T3_
	.globl	_Z16operation_kernelIiLj256ELj2EL23memory_operation_method0E9operationIL16kernel_operation1EiLj2ELj256EEEvPT_S5_T3_
	.p2align	8
	.type	_Z16operation_kernelIiLj256ELj2EL23memory_operation_method0E9operationIL16kernel_operation1EiLj2ELj256EEEvPT_S5_T3_,@function
_Z16operation_kernelIiLj256ELj2EL23memory_operation_method0E9operationIL16kernel_operation1EiLj2ELj256EEEvPT_S5_T3_: ; @_Z16operation_kernelIiLj256ELj2EL23memory_operation_method0E9operationIL16kernel_operation1EiLj2ELj256EEEvPT_S5_T3_
; %bb.0:
	s_load_dwordx4 s[0:3], s[4:5], 0x0
	s_lshl_b32 s4, s6, 9
	s_mov_b32 s5, 0
	s_lshl_b64 s[4:5], s[4:5], 2
	v_lshlrev_b32_e32 v1, 3, v0
	s_waitcnt lgkmcnt(0)
	s_add_u32 s0, s0, s4
	s_addc_u32 s1, s1, s5
	global_load_dwordx2 v[2:3], v1, s[0:1]
	v_mbcnt_lo_u32_b32 v1, -1, 0
	v_mbcnt_hi_u32_b32 v1, -1, v1
	v_and_b32_e32 v6, 15, v1
	v_cmp_ne_u32_e32 vcc, 0, v6
	v_bfe_i32 v7, v1, 4, 1
	v_or_b32_e32 v5, 63, v0
	v_lshrrev_b32_e32 v4, 6, v0
	s_barrier
	s_waitcnt vmcnt(0)
	v_add_u32_e32 v8, v3, v2
	s_nop 1
	v_mov_b32_dpp v9, v8 row_shr:1 row_mask:0xf bank_mask:0xf
	v_cndmask_b32_e32 v9, 0, v9, vcc
	v_add_u32_e32 v8, v9, v8
	v_cmp_lt_u32_e32 vcc, 1, v6
	s_nop 0
	v_mov_b32_dpp v9, v8 row_shr:2 row_mask:0xf bank_mask:0xf
	v_cndmask_b32_e32 v9, 0, v9, vcc
	v_add_u32_e32 v8, v8, v9
	v_cmp_lt_u32_e32 vcc, 3, v6
	;; [unrolled: 5-line block ×4, first 2 shown]
	s_nop 0
	v_mov_b32_dpp v8, v6 row_bcast:15 row_mask:0xf bank_mask:0xf
	v_and_b32_e32 v7, v7, v8
	v_add_u32_e32 v6, v6, v7
	s_nop 1
	v_mov_b32_dpp v7, v6 row_bcast:31 row_mask:0xf bank_mask:0xf
	v_cndmask_b32_e32 v7, 0, v7, vcc
	v_add_u32_e32 v6, v6, v7
	v_cmp_eq_u32_e32 vcc, v5, v0
	s_and_saveexec_b64 s[0:1], vcc
	s_cbranch_execz .LBB21_2
; %bb.1:
	v_lshlrev_b32_e32 v5, 2, v4
	ds_write_b32 v5, v6
.LBB21_2:
	s_or_b64 exec, exec, s[0:1]
	v_lshlrev_b32_e32 v5, 1, v0
	v_cmp_gt_u32_e32 vcc, 4, v0
	s_waitcnt lgkmcnt(0)
	s_barrier
	s_and_saveexec_b64 s[0:1], vcc
	s_cbranch_execz .LBB21_4
; %bb.3:
	v_lshlrev_b32_e32 v7, 2, v0
	ds_read_b32 v8, v7
	v_and_b32_e32 v9, 3, v1
	v_cmp_ne_u32_e32 vcc, 0, v9
	s_waitcnt lgkmcnt(0)
	v_mov_b32_dpp v10, v8 row_shr:1 row_mask:0xf bank_mask:0xf
	v_cndmask_b32_e32 v10, 0, v10, vcc
	v_add_u32_e32 v8, v10, v8
	v_cmp_lt_u32_e32 vcc, 1, v9
	s_nop 0
	v_mov_b32_dpp v10, v8 row_shr:2 row_mask:0xf bank_mask:0xf
	v_cndmask_b32_e32 v9, 0, v10, vcc
	v_add_u32_e32 v8, v8, v9
	ds_write_b32 v7, v8
.LBB21_4:
	s_or_b64 exec, exec, s[0:1]
	v_cmp_lt_u32_e32 vcc, 63, v0
	s_waitcnt lgkmcnt(0)
	s_barrier
	s_waitcnt lgkmcnt(0)
                                        ; implicit-def: $vgpr7
	s_and_saveexec_b64 s[0:1], vcc
	s_cbranch_execz .LBB21_6
; %bb.5:
	v_lshl_add_u32 v4, v4, 2, -4
	ds_read_b32 v7, v4
	s_waitcnt lgkmcnt(0)
	v_add_u32_e32 v6, v7, v6
.LBB21_6:
	s_or_b64 exec, exec, s[0:1]
	v_add_u32_e32 v4, -1, v1
	v_and_b32_e32 v8, 64, v1
	v_cmp_lt_i32_e32 vcc, v4, v8
	v_cndmask_b32_e32 v4, v4, v1, vcc
	v_lshlrev_b32_e32 v4, 2, v4
	ds_bpermute_b32 v4, v4, v6
	v_cmp_eq_u32_e32 vcc, 0, v1
	s_add_u32 s0, s2, s4
	s_addc_u32 s1, s3, s5
	s_waitcnt lgkmcnt(0)
	v_cndmask_b32_e32 v1, v4, v7, vcc
	v_cmp_ne_u32_e32 vcc, 0, v0
	v_cndmask_b32_e32 v0, 0, v1, vcc
	v_add_u32_e32 v0, v0, v2
	v_add_u32_e32 v1, v0, v3
	v_lshlrev_b32_e32 v2, 2, v5
	s_barrier
	global_store_dwordx2 v2, v[0:1], s[0:1]
	s_endpgm
	.section	.rodata,"a",@progbits
	.p2align	6, 0x0
	.amdhsa_kernel _Z16operation_kernelIiLj256ELj2EL23memory_operation_method0E9operationIL16kernel_operation1EiLj2ELj256EEEvPT_S5_T3_
		.amdhsa_group_segment_fixed_size 16
		.amdhsa_private_segment_fixed_size 0
		.amdhsa_kernarg_size 20
		.amdhsa_user_sgpr_count 6
		.amdhsa_user_sgpr_private_segment_buffer 1
		.amdhsa_user_sgpr_dispatch_ptr 0
		.amdhsa_user_sgpr_queue_ptr 0
		.amdhsa_user_sgpr_kernarg_segment_ptr 1
		.amdhsa_user_sgpr_dispatch_id 0
		.amdhsa_user_sgpr_flat_scratch_init 0
		.amdhsa_user_sgpr_kernarg_preload_length 0
		.amdhsa_user_sgpr_kernarg_preload_offset 0
		.amdhsa_user_sgpr_private_segment_size 0
		.amdhsa_uses_dynamic_stack 0
		.amdhsa_system_sgpr_private_segment_wavefront_offset 0
		.amdhsa_system_sgpr_workgroup_id_x 1
		.amdhsa_system_sgpr_workgroup_id_y 0
		.amdhsa_system_sgpr_workgroup_id_z 0
		.amdhsa_system_sgpr_workgroup_info 0
		.amdhsa_system_vgpr_workitem_id 0
		.amdhsa_next_free_vgpr 11
		.amdhsa_next_free_sgpr 7
		.amdhsa_accum_offset 12
		.amdhsa_reserve_vcc 1
		.amdhsa_reserve_flat_scratch 0
		.amdhsa_float_round_mode_32 0
		.amdhsa_float_round_mode_16_64 0
		.amdhsa_float_denorm_mode_32 3
		.amdhsa_float_denorm_mode_16_64 3
		.amdhsa_dx10_clamp 1
		.amdhsa_ieee_mode 1
		.amdhsa_fp16_overflow 0
		.amdhsa_tg_split 0
		.amdhsa_exception_fp_ieee_invalid_op 0
		.amdhsa_exception_fp_denorm_src 0
		.amdhsa_exception_fp_ieee_div_zero 0
		.amdhsa_exception_fp_ieee_overflow 0
		.amdhsa_exception_fp_ieee_underflow 0
		.amdhsa_exception_fp_ieee_inexact 0
		.amdhsa_exception_int_div_zero 0
	.end_amdhsa_kernel
	.section	.text._Z16operation_kernelIiLj256ELj2EL23memory_operation_method0E9operationIL16kernel_operation1EiLj2ELj256EEEvPT_S5_T3_,"axG",@progbits,_Z16operation_kernelIiLj256ELj2EL23memory_operation_method0E9operationIL16kernel_operation1EiLj2ELj256EEEvPT_S5_T3_,comdat
.Lfunc_end21:
	.size	_Z16operation_kernelIiLj256ELj2EL23memory_operation_method0E9operationIL16kernel_operation1EiLj2ELj256EEEvPT_S5_T3_, .Lfunc_end21-_Z16operation_kernelIiLj256ELj2EL23memory_operation_method0E9operationIL16kernel_operation1EiLj2ELj256EEEvPT_S5_T3_
                                        ; -- End function
	.section	.AMDGPU.csdata,"",@progbits
; Kernel info:
; codeLenInByte = 496
; NumSgprs: 11
; NumVgprs: 11
; NumAgprs: 0
; TotalNumVgprs: 11
; ScratchSize: 0
; MemoryBound: 0
; FloatMode: 240
; IeeeMode: 1
; LDSByteSize: 16 bytes/workgroup (compile time only)
; SGPRBlocks: 1
; VGPRBlocks: 1
; NumSGPRsForWavesPerEU: 11
; NumVGPRsForWavesPerEU: 11
; AccumOffset: 12
; Occupancy: 8
; WaveLimiterHint : 0
; COMPUTE_PGM_RSRC2:SCRATCH_EN: 0
; COMPUTE_PGM_RSRC2:USER_SGPR: 6
; COMPUTE_PGM_RSRC2:TRAP_HANDLER: 0
; COMPUTE_PGM_RSRC2:TGID_X_EN: 1
; COMPUTE_PGM_RSRC2:TGID_Y_EN: 0
; COMPUTE_PGM_RSRC2:TGID_Z_EN: 0
; COMPUTE_PGM_RSRC2:TIDIG_COMP_CNT: 0
; COMPUTE_PGM_RSRC3_GFX90A:ACCUM_OFFSET: 2
; COMPUTE_PGM_RSRC3_GFX90A:TG_SPLIT: 0
	.section	.text._Z16operation_kernelIiLj256ELj4EL23memory_operation_method0E9operationIL16kernel_operation1EiLj4ELj256EEEvPT_S5_T3_,"axG",@progbits,_Z16operation_kernelIiLj256ELj4EL23memory_operation_method0E9operationIL16kernel_operation1EiLj4ELj256EEEvPT_S5_T3_,comdat
	.protected	_Z16operation_kernelIiLj256ELj4EL23memory_operation_method0E9operationIL16kernel_operation1EiLj4ELj256EEEvPT_S5_T3_ ; -- Begin function _Z16operation_kernelIiLj256ELj4EL23memory_operation_method0E9operationIL16kernel_operation1EiLj4ELj256EEEvPT_S5_T3_
	.globl	_Z16operation_kernelIiLj256ELj4EL23memory_operation_method0E9operationIL16kernel_operation1EiLj4ELj256EEEvPT_S5_T3_
	.p2align	8
	.type	_Z16operation_kernelIiLj256ELj4EL23memory_operation_method0E9operationIL16kernel_operation1EiLj4ELj256EEEvPT_S5_T3_,@function
_Z16operation_kernelIiLj256ELj4EL23memory_operation_method0E9operationIL16kernel_operation1EiLj4ELj256EEEvPT_S5_T3_: ; @_Z16operation_kernelIiLj256ELj4EL23memory_operation_method0E9operationIL16kernel_operation1EiLj4ELj256EEEvPT_S5_T3_
; %bb.0:
	s_load_dwordx4 s[0:3], s[4:5], 0x0
	s_lshl_b32 s4, s6, 10
	s_mov_b32 s5, 0
	s_lshl_b64 s[4:5], s[4:5], 2
	v_lshlrev_b32_e32 v1, 4, v0
	s_waitcnt lgkmcnt(0)
	s_add_u32 s0, s0, s4
	s_addc_u32 s1, s1, s5
	global_load_dwordx4 v[2:5], v1, s[0:1]
	v_mbcnt_lo_u32_b32 v1, -1, 0
	v_mbcnt_hi_u32_b32 v1, -1, v1
	v_and_b32_e32 v8, 15, v1
	v_cmp_ne_u32_e32 vcc, 0, v8
	v_bfe_i32 v9, v1, 4, 1
	v_or_b32_e32 v7, 63, v0
	v_lshrrev_b32_e32 v6, 6, v0
	s_barrier
	s_waitcnt vmcnt(0)
	v_add_u32_e32 v10, v3, v2
	v_add3_u32 v10, v10, v4, v5
	s_nop 1
	v_mov_b32_dpp v11, v10 row_shr:1 row_mask:0xf bank_mask:0xf
	v_cndmask_b32_e32 v11, 0, v11, vcc
	v_add_u32_e32 v10, v11, v10
	v_cmp_lt_u32_e32 vcc, 1, v8
	s_nop 0
	v_mov_b32_dpp v11, v10 row_shr:2 row_mask:0xf bank_mask:0xf
	v_cndmask_b32_e32 v11, 0, v11, vcc
	v_add_u32_e32 v10, v10, v11
	v_cmp_lt_u32_e32 vcc, 3, v8
	;; [unrolled: 5-line block ×4, first 2 shown]
	s_nop 0
	v_mov_b32_dpp v10, v8 row_bcast:15 row_mask:0xf bank_mask:0xf
	v_and_b32_e32 v9, v9, v10
	v_add_u32_e32 v8, v8, v9
	s_nop 1
	v_mov_b32_dpp v9, v8 row_bcast:31 row_mask:0xf bank_mask:0xf
	v_cndmask_b32_e32 v9, 0, v9, vcc
	v_add_u32_e32 v8, v8, v9
	v_cmp_eq_u32_e32 vcc, v7, v0
	s_and_saveexec_b64 s[0:1], vcc
	s_cbranch_execz .LBB22_2
; %bb.1:
	v_lshlrev_b32_e32 v7, 2, v6
	ds_write_b32 v7, v8
.LBB22_2:
	s_or_b64 exec, exec, s[0:1]
	v_lshlrev_b32_e32 v7, 2, v0
	v_cmp_gt_u32_e32 vcc, 4, v0
	s_waitcnt lgkmcnt(0)
	s_barrier
	s_and_saveexec_b64 s[0:1], vcc
	s_cbranch_execz .LBB22_4
; %bb.3:
	ds_read_b32 v9, v7
	v_and_b32_e32 v10, 3, v1
	v_cmp_ne_u32_e32 vcc, 0, v10
	s_waitcnt lgkmcnt(0)
	v_mov_b32_dpp v11, v9 row_shr:1 row_mask:0xf bank_mask:0xf
	v_cndmask_b32_e32 v11, 0, v11, vcc
	v_add_u32_e32 v9, v11, v9
	v_cmp_lt_u32_e32 vcc, 1, v10
	s_nop 0
	v_mov_b32_dpp v11, v9 row_shr:2 row_mask:0xf bank_mask:0xf
	v_cndmask_b32_e32 v10, 0, v11, vcc
	v_add_u32_e32 v9, v9, v10
	ds_write_b32 v7, v9
.LBB22_4:
	s_or_b64 exec, exec, s[0:1]
	v_cmp_lt_u32_e32 vcc, 63, v0
	s_waitcnt lgkmcnt(0)
	s_barrier
	s_waitcnt lgkmcnt(0)
                                        ; implicit-def: $vgpr9
	s_and_saveexec_b64 s[0:1], vcc
	s_cbranch_execz .LBB22_6
; %bb.5:
	v_lshl_add_u32 v6, v6, 2, -4
	ds_read_b32 v9, v6
	s_waitcnt lgkmcnt(0)
	v_add_u32_e32 v8, v9, v8
.LBB22_6:
	s_or_b64 exec, exec, s[0:1]
	v_add_u32_e32 v6, -1, v1
	v_and_b32_e32 v10, 64, v1
	v_cmp_lt_i32_e32 vcc, v6, v10
	v_cndmask_b32_e32 v6, v6, v1, vcc
	v_lshlrev_b32_e32 v6, 2, v6
	ds_bpermute_b32 v6, v6, v8
	v_cmp_eq_u32_e32 vcc, 0, v1
	s_add_u32 s0, s2, s4
	s_addc_u32 s1, s3, s5
	s_waitcnt lgkmcnt(0)
	v_cndmask_b32_e32 v1, v6, v9, vcc
	v_cmp_ne_u32_e32 vcc, 0, v0
	v_cndmask_b32_e32 v0, 0, v1, vcc
	v_add_u32_e32 v0, v0, v2
	v_add_u32_e32 v1, v0, v3
	v_add_u32_e32 v2, v1, v4
	v_add_u32_e32 v3, v2, v5
	v_lshlrev_b32_e32 v4, 2, v7
	s_barrier
	global_store_dwordx4 v4, v[0:3], s[0:1]
	s_endpgm
	.section	.rodata,"a",@progbits
	.p2align	6, 0x0
	.amdhsa_kernel _Z16operation_kernelIiLj256ELj4EL23memory_operation_method0E9operationIL16kernel_operation1EiLj4ELj256EEEvPT_S5_T3_
		.amdhsa_group_segment_fixed_size 16
		.amdhsa_private_segment_fixed_size 0
		.amdhsa_kernarg_size 20
		.amdhsa_user_sgpr_count 6
		.amdhsa_user_sgpr_private_segment_buffer 1
		.amdhsa_user_sgpr_dispatch_ptr 0
		.amdhsa_user_sgpr_queue_ptr 0
		.amdhsa_user_sgpr_kernarg_segment_ptr 1
		.amdhsa_user_sgpr_dispatch_id 0
		.amdhsa_user_sgpr_flat_scratch_init 0
		.amdhsa_user_sgpr_kernarg_preload_length 0
		.amdhsa_user_sgpr_kernarg_preload_offset 0
		.amdhsa_user_sgpr_private_segment_size 0
		.amdhsa_uses_dynamic_stack 0
		.amdhsa_system_sgpr_private_segment_wavefront_offset 0
		.amdhsa_system_sgpr_workgroup_id_x 1
		.amdhsa_system_sgpr_workgroup_id_y 0
		.amdhsa_system_sgpr_workgroup_id_z 0
		.amdhsa_system_sgpr_workgroup_info 0
		.amdhsa_system_vgpr_workitem_id 0
		.amdhsa_next_free_vgpr 12
		.amdhsa_next_free_sgpr 7
		.amdhsa_accum_offset 12
		.amdhsa_reserve_vcc 1
		.amdhsa_reserve_flat_scratch 0
		.amdhsa_float_round_mode_32 0
		.amdhsa_float_round_mode_16_64 0
		.amdhsa_float_denorm_mode_32 3
		.amdhsa_float_denorm_mode_16_64 3
		.amdhsa_dx10_clamp 1
		.amdhsa_ieee_mode 1
		.amdhsa_fp16_overflow 0
		.amdhsa_tg_split 0
		.amdhsa_exception_fp_ieee_invalid_op 0
		.amdhsa_exception_fp_denorm_src 0
		.amdhsa_exception_fp_ieee_div_zero 0
		.amdhsa_exception_fp_ieee_overflow 0
		.amdhsa_exception_fp_ieee_underflow 0
		.amdhsa_exception_fp_ieee_inexact 0
		.amdhsa_exception_int_div_zero 0
	.end_amdhsa_kernel
	.section	.text._Z16operation_kernelIiLj256ELj4EL23memory_operation_method0E9operationIL16kernel_operation1EiLj4ELj256EEEvPT_S5_T3_,"axG",@progbits,_Z16operation_kernelIiLj256ELj4EL23memory_operation_method0E9operationIL16kernel_operation1EiLj4ELj256EEEvPT_S5_T3_,comdat
.Lfunc_end22:
	.size	_Z16operation_kernelIiLj256ELj4EL23memory_operation_method0E9operationIL16kernel_operation1EiLj4ELj256EEEvPT_S5_T3_, .Lfunc_end22-_Z16operation_kernelIiLj256ELj4EL23memory_operation_method0E9operationIL16kernel_operation1EiLj4ELj256EEEvPT_S5_T3_
                                        ; -- End function
	.section	.AMDGPU.csdata,"",@progbits
; Kernel info:
; codeLenInByte = 508
; NumSgprs: 11
; NumVgprs: 12
; NumAgprs: 0
; TotalNumVgprs: 12
; ScratchSize: 0
; MemoryBound: 0
; FloatMode: 240
; IeeeMode: 1
; LDSByteSize: 16 bytes/workgroup (compile time only)
; SGPRBlocks: 1
; VGPRBlocks: 1
; NumSGPRsForWavesPerEU: 11
; NumVGPRsForWavesPerEU: 12
; AccumOffset: 12
; Occupancy: 8
; WaveLimiterHint : 0
; COMPUTE_PGM_RSRC2:SCRATCH_EN: 0
; COMPUTE_PGM_RSRC2:USER_SGPR: 6
; COMPUTE_PGM_RSRC2:TRAP_HANDLER: 0
; COMPUTE_PGM_RSRC2:TGID_X_EN: 1
; COMPUTE_PGM_RSRC2:TGID_Y_EN: 0
; COMPUTE_PGM_RSRC2:TGID_Z_EN: 0
; COMPUTE_PGM_RSRC2:TIDIG_COMP_CNT: 0
; COMPUTE_PGM_RSRC3_GFX90A:ACCUM_OFFSET: 2
; COMPUTE_PGM_RSRC3_GFX90A:TG_SPLIT: 0
	.section	.text._Z16operation_kernelIiLj256ELj8EL23memory_operation_method0E9operationIL16kernel_operation1EiLj8ELj256EEEvPT_S5_T3_,"axG",@progbits,_Z16operation_kernelIiLj256ELj8EL23memory_operation_method0E9operationIL16kernel_operation1EiLj8ELj256EEEvPT_S5_T3_,comdat
	.protected	_Z16operation_kernelIiLj256ELj8EL23memory_operation_method0E9operationIL16kernel_operation1EiLj8ELj256EEEvPT_S5_T3_ ; -- Begin function _Z16operation_kernelIiLj256ELj8EL23memory_operation_method0E9operationIL16kernel_operation1EiLj8ELj256EEEvPT_S5_T3_
	.globl	_Z16operation_kernelIiLj256ELj8EL23memory_operation_method0E9operationIL16kernel_operation1EiLj8ELj256EEEvPT_S5_T3_
	.p2align	8
	.type	_Z16operation_kernelIiLj256ELj8EL23memory_operation_method0E9operationIL16kernel_operation1EiLj8ELj256EEEvPT_S5_T3_,@function
_Z16operation_kernelIiLj256ELj8EL23memory_operation_method0E9operationIL16kernel_operation1EiLj8ELj256EEEvPT_S5_T3_: ; @_Z16operation_kernelIiLj256ELj8EL23memory_operation_method0E9operationIL16kernel_operation1EiLj8ELj256EEEvPT_S5_T3_
; %bb.0:
	s_load_dwordx4 s[0:3], s[4:5], 0x0
	s_lshl_b32 s4, s6, 11
	s_mov_b32 s5, 0
	s_lshl_b64 s[4:5], s[4:5], 2
	v_lshlrev_b32_e32 v1, 5, v0
	s_waitcnt lgkmcnt(0)
	s_add_u32 s0, s0, s4
	s_addc_u32 s1, s1, s5
	global_load_dwordx4 v[6:9], v1, s[0:1]
	global_load_dwordx4 v[2:5], v1, s[0:1] offset:16
	v_mbcnt_lo_u32_b32 v1, -1, 0
	v_mbcnt_hi_u32_b32 v1, -1, v1
	v_and_b32_e32 v12, 15, v1
	v_cmp_ne_u32_e32 vcc, 0, v12
	v_bfe_i32 v13, v1, 4, 1
	v_or_b32_e32 v11, 63, v0
	v_lshrrev_b32_e32 v10, 6, v0
	s_barrier
	s_waitcnt vmcnt(1)
	v_add_u32_e32 v14, v7, v6
	v_add3_u32 v14, v14, v8, v9
	s_waitcnt vmcnt(0)
	v_add3_u32 v14, v14, v2, v3
	v_add3_u32 v14, v14, v4, v5
	s_nop 1
	v_mov_b32_dpp v15, v14 row_shr:1 row_mask:0xf bank_mask:0xf
	v_cndmask_b32_e32 v15, 0, v15, vcc
	v_add_u32_e32 v14, v15, v14
	v_cmp_lt_u32_e32 vcc, 1, v12
	s_nop 0
	v_mov_b32_dpp v15, v14 row_shr:2 row_mask:0xf bank_mask:0xf
	v_cndmask_b32_e32 v15, 0, v15, vcc
	v_add_u32_e32 v14, v14, v15
	v_cmp_lt_u32_e32 vcc, 3, v12
	;; [unrolled: 5-line block ×4, first 2 shown]
	s_nop 0
	v_mov_b32_dpp v14, v12 row_bcast:15 row_mask:0xf bank_mask:0xf
	v_and_b32_e32 v13, v13, v14
	v_add_u32_e32 v12, v12, v13
	s_nop 1
	v_mov_b32_dpp v13, v12 row_bcast:31 row_mask:0xf bank_mask:0xf
	v_cndmask_b32_e32 v13, 0, v13, vcc
	v_add_u32_e32 v12, v12, v13
	v_cmp_eq_u32_e32 vcc, v11, v0
	s_and_saveexec_b64 s[0:1], vcc
	s_cbranch_execz .LBB23_2
; %bb.1:
	v_lshlrev_b32_e32 v11, 2, v10
	ds_write_b32 v11, v12
.LBB23_2:
	s_or_b64 exec, exec, s[0:1]
	v_lshlrev_b32_e32 v11, 3, v0
	v_cmp_gt_u32_e32 vcc, 4, v0
	s_waitcnt lgkmcnt(0)
	s_barrier
	s_and_saveexec_b64 s[0:1], vcc
	s_cbranch_execz .LBB23_4
; %bb.3:
	v_lshlrev_b32_e32 v13, 2, v0
	ds_read_b32 v14, v13
	v_and_b32_e32 v15, 3, v1
	v_cmp_ne_u32_e32 vcc, 0, v15
	s_waitcnt lgkmcnt(0)
	v_mov_b32_dpp v16, v14 row_shr:1 row_mask:0xf bank_mask:0xf
	v_cndmask_b32_e32 v16, 0, v16, vcc
	v_add_u32_e32 v14, v16, v14
	v_cmp_lt_u32_e32 vcc, 1, v15
	s_nop 0
	v_mov_b32_dpp v16, v14 row_shr:2 row_mask:0xf bank_mask:0xf
	v_cndmask_b32_e32 v15, 0, v16, vcc
	v_add_u32_e32 v14, v14, v15
	ds_write_b32 v13, v14
.LBB23_4:
	s_or_b64 exec, exec, s[0:1]
	v_cmp_lt_u32_e32 vcc, 63, v0
	s_waitcnt lgkmcnt(0)
	s_barrier
	s_waitcnt lgkmcnt(0)
                                        ; implicit-def: $vgpr13
	s_and_saveexec_b64 s[0:1], vcc
	s_cbranch_execz .LBB23_6
; %bb.5:
	v_lshl_add_u32 v10, v10, 2, -4
	ds_read_b32 v13, v10
	s_waitcnt lgkmcnt(0)
	v_add_u32_e32 v12, v13, v12
.LBB23_6:
	s_or_b64 exec, exec, s[0:1]
	v_add_u32_e32 v10, -1, v1
	v_and_b32_e32 v14, 64, v1
	v_cmp_lt_i32_e32 vcc, v10, v14
	v_cndmask_b32_e32 v10, v10, v1, vcc
	v_lshlrev_b32_e32 v10, 2, v10
	ds_bpermute_b32 v10, v10, v12
	v_cmp_eq_u32_e32 vcc, 0, v1
	s_add_u32 s0, s2, s4
	s_addc_u32 s1, s3, s5
	s_waitcnt lgkmcnt(0)
	v_cndmask_b32_e32 v1, v10, v13, vcc
	v_cmp_ne_u32_e32 vcc, 0, v0
	v_cndmask_b32_e32 v0, 0, v1, vcc
	v_add_u32_e32 v6, v0, v6
	v_add_u32_e32 v7, v6, v7
	v_add_u32_e32 v8, v7, v8
	v_add_u32_e32 v9, v8, v9
	v_add_u32_e32 v0, v9, v2
	v_add_u32_e32 v1, v0, v3
	v_add_u32_e32 v2, v1, v4
	v_lshlrev_b32_e32 v4, 2, v11
	v_add_u32_e32 v3, v2, v5
	s_barrier
	global_store_dwordx4 v4, v[6:9], s[0:1]
	global_store_dwordx4 v4, v[0:3], s[0:1] offset:16
	s_endpgm
	.section	.rodata,"a",@progbits
	.p2align	6, 0x0
	.amdhsa_kernel _Z16operation_kernelIiLj256ELj8EL23memory_operation_method0E9operationIL16kernel_operation1EiLj8ELj256EEEvPT_S5_T3_
		.amdhsa_group_segment_fixed_size 16
		.amdhsa_private_segment_fixed_size 0
		.amdhsa_kernarg_size 20
		.amdhsa_user_sgpr_count 6
		.amdhsa_user_sgpr_private_segment_buffer 1
		.amdhsa_user_sgpr_dispatch_ptr 0
		.amdhsa_user_sgpr_queue_ptr 0
		.amdhsa_user_sgpr_kernarg_segment_ptr 1
		.amdhsa_user_sgpr_dispatch_id 0
		.amdhsa_user_sgpr_flat_scratch_init 0
		.amdhsa_user_sgpr_kernarg_preload_length 0
		.amdhsa_user_sgpr_kernarg_preload_offset 0
		.amdhsa_user_sgpr_private_segment_size 0
		.amdhsa_uses_dynamic_stack 0
		.amdhsa_system_sgpr_private_segment_wavefront_offset 0
		.amdhsa_system_sgpr_workgroup_id_x 1
		.amdhsa_system_sgpr_workgroup_id_y 0
		.amdhsa_system_sgpr_workgroup_id_z 0
		.amdhsa_system_sgpr_workgroup_info 0
		.amdhsa_system_vgpr_workitem_id 0
		.amdhsa_next_free_vgpr 17
		.amdhsa_next_free_sgpr 7
		.amdhsa_accum_offset 20
		.amdhsa_reserve_vcc 1
		.amdhsa_reserve_flat_scratch 0
		.amdhsa_float_round_mode_32 0
		.amdhsa_float_round_mode_16_64 0
		.amdhsa_float_denorm_mode_32 3
		.amdhsa_float_denorm_mode_16_64 3
		.amdhsa_dx10_clamp 1
		.amdhsa_ieee_mode 1
		.amdhsa_fp16_overflow 0
		.amdhsa_tg_split 0
		.amdhsa_exception_fp_ieee_invalid_op 0
		.amdhsa_exception_fp_denorm_src 0
		.amdhsa_exception_fp_ieee_div_zero 0
		.amdhsa_exception_fp_ieee_overflow 0
		.amdhsa_exception_fp_ieee_underflow 0
		.amdhsa_exception_fp_ieee_inexact 0
		.amdhsa_exception_int_div_zero 0
	.end_amdhsa_kernel
	.section	.text._Z16operation_kernelIiLj256ELj8EL23memory_operation_method0E9operationIL16kernel_operation1EiLj8ELj256EEEvPT_S5_T3_,"axG",@progbits,_Z16operation_kernelIiLj256ELj8EL23memory_operation_method0E9operationIL16kernel_operation1EiLj8ELj256EEEvPT_S5_T3_,comdat
.Lfunc_end23:
	.size	_Z16operation_kernelIiLj256ELj8EL23memory_operation_method0E9operationIL16kernel_operation1EiLj8ELj256EEEvPT_S5_T3_, .Lfunc_end23-_Z16operation_kernelIiLj256ELj8EL23memory_operation_method0E9operationIL16kernel_operation1EiLj8ELj256EEEvPT_S5_T3_
                                        ; -- End function
	.section	.AMDGPU.csdata,"",@progbits
; Kernel info:
; codeLenInByte = 564
; NumSgprs: 11
; NumVgprs: 17
; NumAgprs: 0
; TotalNumVgprs: 17
; ScratchSize: 0
; MemoryBound: 0
; FloatMode: 240
; IeeeMode: 1
; LDSByteSize: 16 bytes/workgroup (compile time only)
; SGPRBlocks: 1
; VGPRBlocks: 2
; NumSGPRsForWavesPerEU: 11
; NumVGPRsForWavesPerEU: 17
; AccumOffset: 20
; Occupancy: 8
; WaveLimiterHint : 0
; COMPUTE_PGM_RSRC2:SCRATCH_EN: 0
; COMPUTE_PGM_RSRC2:USER_SGPR: 6
; COMPUTE_PGM_RSRC2:TRAP_HANDLER: 0
; COMPUTE_PGM_RSRC2:TGID_X_EN: 1
; COMPUTE_PGM_RSRC2:TGID_Y_EN: 0
; COMPUTE_PGM_RSRC2:TGID_Z_EN: 0
; COMPUTE_PGM_RSRC2:TIDIG_COMP_CNT: 0
; COMPUTE_PGM_RSRC3_GFX90A:ACCUM_OFFSET: 4
; COMPUTE_PGM_RSRC3_GFX90A:TG_SPLIT: 0
	.section	.text._Z16operation_kernelIiLj256ELj1EL23memory_operation_method1E9operationIL16kernel_operation1EiLj1ELj256EEEvPT_S5_T3_,"axG",@progbits,_Z16operation_kernelIiLj256ELj1EL23memory_operation_method1E9operationIL16kernel_operation1EiLj1ELj256EEEvPT_S5_T3_,comdat
	.protected	_Z16operation_kernelIiLj256ELj1EL23memory_operation_method1E9operationIL16kernel_operation1EiLj1ELj256EEEvPT_S5_T3_ ; -- Begin function _Z16operation_kernelIiLj256ELj1EL23memory_operation_method1E9operationIL16kernel_operation1EiLj1ELj256EEEvPT_S5_T3_
	.globl	_Z16operation_kernelIiLj256ELj1EL23memory_operation_method1E9operationIL16kernel_operation1EiLj1ELj256EEEvPT_S5_T3_
	.p2align	8
	.type	_Z16operation_kernelIiLj256ELj1EL23memory_operation_method1E9operationIL16kernel_operation1EiLj1ELj256EEEvPT_S5_T3_,@function
_Z16operation_kernelIiLj256ELj1EL23memory_operation_method1E9operationIL16kernel_operation1EiLj1ELj256EEEvPT_S5_T3_: ; @_Z16operation_kernelIiLj256ELj1EL23memory_operation_method1E9operationIL16kernel_operation1EiLj1ELj256EEEvPT_S5_T3_
; %bb.0:
	s_load_dwordx4 s[0:3], s[4:5], 0x0
	s_lshl_b32 s4, s6, 8
	s_mov_b32 s5, 0
	s_lshl_b64 s[4:5], s[4:5], 2
	v_lshlrev_b32_e32 v1, 2, v0
	s_waitcnt lgkmcnt(0)
	s_add_u32 s0, s0, s4
	s_addc_u32 s1, s1, s5
	global_load_dword v4, v1, s[0:1]
	v_mbcnt_lo_u32_b32 v2, -1, 0
	v_mbcnt_hi_u32_b32 v2, -1, v2
	v_and_b32_e32 v6, 15, v2
	v_cmp_ne_u32_e32 vcc, 0, v6
	v_bfe_i32 v7, v2, 4, 1
	v_or_b32_e32 v5, 63, v0
	v_lshrrev_b32_e32 v3, 6, v0
	s_barrier
	s_waitcnt vmcnt(0)
	v_mov_b32_dpp v8, v4 row_shr:1 row_mask:0xf bank_mask:0xf
	v_cndmask_b32_e32 v8, 0, v8, vcc
	v_add_u32_e32 v4, v8, v4
	v_cmp_lt_u32_e32 vcc, 1, v6
	s_nop 0
	v_mov_b32_dpp v8, v4 row_shr:2 row_mask:0xf bank_mask:0xf
	v_cndmask_b32_e32 v8, 0, v8, vcc
	v_add_u32_e32 v4, v4, v8
	v_cmp_lt_u32_e32 vcc, 3, v6
	s_nop 0
	;; [unrolled: 5-line block ×4, first 2 shown]
	v_mov_b32_dpp v6, v4 row_bcast:15 row_mask:0xf bank_mask:0xf
	v_and_b32_e32 v6, v7, v6
	v_add_u32_e32 v4, v4, v6
	s_nop 1
	v_mov_b32_dpp v6, v4 row_bcast:31 row_mask:0xf bank_mask:0xf
	v_cndmask_b32_e32 v6, 0, v6, vcc
	v_add_u32_e32 v4, v4, v6
	v_cmp_eq_u32_e32 vcc, v5, v0
	s_and_saveexec_b64 s[0:1], vcc
	s_cbranch_execz .LBB24_2
; %bb.1:
	v_lshlrev_b32_e32 v5, 2, v3
	ds_write_b32 v5, v4
.LBB24_2:
	s_or_b64 exec, exec, s[0:1]
	v_cmp_gt_u32_e32 vcc, 4, v0
	s_waitcnt lgkmcnt(0)
	s_barrier
	s_and_saveexec_b64 s[0:1], vcc
	s_cbranch_execz .LBB24_4
; %bb.3:
	ds_read_b32 v5, v1
	v_and_b32_e32 v2, 3, v2
	v_cmp_ne_u32_e32 vcc, 0, v2
	s_waitcnt lgkmcnt(0)
	v_mov_b32_dpp v6, v5 row_shr:1 row_mask:0xf bank_mask:0xf
	v_cndmask_b32_e32 v6, 0, v6, vcc
	v_add_u32_e32 v5, v6, v5
	v_cmp_lt_u32_e32 vcc, 1, v2
	s_nop 0
	v_mov_b32_dpp v6, v5 row_shr:2 row_mask:0xf bank_mask:0xf
	v_cndmask_b32_e32 v2, 0, v6, vcc
	v_add_u32_e32 v2, v5, v2
	ds_write_b32 v1, v2
.LBB24_4:
	s_or_b64 exec, exec, s[0:1]
	v_cmp_lt_u32_e32 vcc, 63, v0
	s_waitcnt lgkmcnt(0)
	s_barrier
	s_and_saveexec_b64 s[0:1], vcc
	s_cbranch_execz .LBB24_6
; %bb.5:
	v_lshl_add_u32 v0, v3, 2, -4
	ds_read_b32 v0, v0
	s_waitcnt lgkmcnt(0)
	v_add_u32_e32 v4, v0, v4
.LBB24_6:
	s_or_b64 exec, exec, s[0:1]
	s_add_u32 s0, s2, s4
	s_addc_u32 s1, s3, s5
	s_barrier
	global_store_dword v1, v4, s[0:1]
	s_endpgm
	.section	.rodata,"a",@progbits
	.p2align	6, 0x0
	.amdhsa_kernel _Z16operation_kernelIiLj256ELj1EL23memory_operation_method1E9operationIL16kernel_operation1EiLj1ELj256EEEvPT_S5_T3_
		.amdhsa_group_segment_fixed_size 16
		.amdhsa_private_segment_fixed_size 0
		.amdhsa_kernarg_size 20
		.amdhsa_user_sgpr_count 6
		.amdhsa_user_sgpr_private_segment_buffer 1
		.amdhsa_user_sgpr_dispatch_ptr 0
		.amdhsa_user_sgpr_queue_ptr 0
		.amdhsa_user_sgpr_kernarg_segment_ptr 1
		.amdhsa_user_sgpr_dispatch_id 0
		.amdhsa_user_sgpr_flat_scratch_init 0
		.amdhsa_user_sgpr_kernarg_preload_length 0
		.amdhsa_user_sgpr_kernarg_preload_offset 0
		.amdhsa_user_sgpr_private_segment_size 0
		.amdhsa_uses_dynamic_stack 0
		.amdhsa_system_sgpr_private_segment_wavefront_offset 0
		.amdhsa_system_sgpr_workgroup_id_x 1
		.amdhsa_system_sgpr_workgroup_id_y 0
		.amdhsa_system_sgpr_workgroup_id_z 0
		.amdhsa_system_sgpr_workgroup_info 0
		.amdhsa_system_vgpr_workitem_id 0
		.amdhsa_next_free_vgpr 9
		.amdhsa_next_free_sgpr 7
		.amdhsa_accum_offset 12
		.amdhsa_reserve_vcc 1
		.amdhsa_reserve_flat_scratch 0
		.amdhsa_float_round_mode_32 0
		.amdhsa_float_round_mode_16_64 0
		.amdhsa_float_denorm_mode_32 3
		.amdhsa_float_denorm_mode_16_64 3
		.amdhsa_dx10_clamp 1
		.amdhsa_ieee_mode 1
		.amdhsa_fp16_overflow 0
		.amdhsa_tg_split 0
		.amdhsa_exception_fp_ieee_invalid_op 0
		.amdhsa_exception_fp_denorm_src 0
		.amdhsa_exception_fp_ieee_div_zero 0
		.amdhsa_exception_fp_ieee_overflow 0
		.amdhsa_exception_fp_ieee_underflow 0
		.amdhsa_exception_fp_ieee_inexact 0
		.amdhsa_exception_int_div_zero 0
	.end_amdhsa_kernel
	.section	.text._Z16operation_kernelIiLj256ELj1EL23memory_operation_method1E9operationIL16kernel_operation1EiLj1ELj256EEEvPT_S5_T3_,"axG",@progbits,_Z16operation_kernelIiLj256ELj1EL23memory_operation_method1E9operationIL16kernel_operation1EiLj1ELj256EEEvPT_S5_T3_,comdat
.Lfunc_end24:
	.size	_Z16operation_kernelIiLj256ELj1EL23memory_operation_method1E9operationIL16kernel_operation1EiLj1ELj256EEEvPT_S5_T3_, .Lfunc_end24-_Z16operation_kernelIiLj256ELj1EL23memory_operation_method1E9operationIL16kernel_operation1EiLj1ELj256EEEvPT_S5_T3_
                                        ; -- End function
	.section	.AMDGPU.csdata,"",@progbits
; Kernel info:
; codeLenInByte = 416
; NumSgprs: 11
; NumVgprs: 9
; NumAgprs: 0
; TotalNumVgprs: 9
; ScratchSize: 0
; MemoryBound: 0
; FloatMode: 240
; IeeeMode: 1
; LDSByteSize: 16 bytes/workgroup (compile time only)
; SGPRBlocks: 1
; VGPRBlocks: 1
; NumSGPRsForWavesPerEU: 11
; NumVGPRsForWavesPerEU: 9
; AccumOffset: 12
; Occupancy: 8
; WaveLimiterHint : 0
; COMPUTE_PGM_RSRC2:SCRATCH_EN: 0
; COMPUTE_PGM_RSRC2:USER_SGPR: 6
; COMPUTE_PGM_RSRC2:TRAP_HANDLER: 0
; COMPUTE_PGM_RSRC2:TGID_X_EN: 1
; COMPUTE_PGM_RSRC2:TGID_Y_EN: 0
; COMPUTE_PGM_RSRC2:TGID_Z_EN: 0
; COMPUTE_PGM_RSRC2:TIDIG_COMP_CNT: 0
; COMPUTE_PGM_RSRC3_GFX90A:ACCUM_OFFSET: 2
; COMPUTE_PGM_RSRC3_GFX90A:TG_SPLIT: 0
	.section	.text._Z16operation_kernelIiLj256ELj2EL23memory_operation_method1E9operationIL16kernel_operation1EiLj2ELj256EEEvPT_S5_T3_,"axG",@progbits,_Z16operation_kernelIiLj256ELj2EL23memory_operation_method1E9operationIL16kernel_operation1EiLj2ELj256EEEvPT_S5_T3_,comdat
	.protected	_Z16operation_kernelIiLj256ELj2EL23memory_operation_method1E9operationIL16kernel_operation1EiLj2ELj256EEEvPT_S5_T3_ ; -- Begin function _Z16operation_kernelIiLj256ELj2EL23memory_operation_method1E9operationIL16kernel_operation1EiLj2ELj256EEEvPT_S5_T3_
	.globl	_Z16operation_kernelIiLj256ELj2EL23memory_operation_method1E9operationIL16kernel_operation1EiLj2ELj256EEEvPT_S5_T3_
	.p2align	8
	.type	_Z16operation_kernelIiLj256ELj2EL23memory_operation_method1E9operationIL16kernel_operation1EiLj2ELj256EEEvPT_S5_T3_,@function
_Z16operation_kernelIiLj256ELj2EL23memory_operation_method1E9operationIL16kernel_operation1EiLj2ELj256EEEvPT_S5_T3_: ; @_Z16operation_kernelIiLj256ELj2EL23memory_operation_method1E9operationIL16kernel_operation1EiLj2ELj256EEEvPT_S5_T3_
; %bb.0:
	s_load_dwordx4 s[0:3], s[4:5], 0x0
	s_lshl_b32 s4, s6, 9
	s_mov_b32 s5, 0
	s_lshl_b64 s[4:5], s[4:5], 2
	v_lshlrev_b32_e32 v1, 2, v0
	s_waitcnt lgkmcnt(0)
	s_add_u32 s0, s0, s4
	s_addc_u32 s1, s1, s5
	global_load_dword v2, v1, s[0:1]
	global_load_dword v3, v1, s[0:1] offset:1024
	v_mbcnt_lo_u32_b32 v4, -1, 0
	v_mbcnt_hi_u32_b32 v4, -1, v4
	v_and_b32_e32 v6, 15, v4
	v_cmp_ne_u32_e32 vcc, 0, v6
	v_bfe_i32 v8, v4, 4, 1
	v_or_b32_e32 v7, 63, v0
	v_lshrrev_b32_e32 v5, 6, v0
	s_barrier
	s_waitcnt vmcnt(0)
	v_add_u32_e32 v9, v3, v2
	s_nop 1
	v_mov_b32_dpp v10, v9 row_shr:1 row_mask:0xf bank_mask:0xf
	v_cndmask_b32_e32 v10, 0, v10, vcc
	v_add_u32_e32 v9, v10, v9
	v_cmp_lt_u32_e32 vcc, 1, v6
	s_nop 0
	v_mov_b32_dpp v10, v9 row_shr:2 row_mask:0xf bank_mask:0xf
	v_cndmask_b32_e32 v10, 0, v10, vcc
	v_add_u32_e32 v9, v9, v10
	v_cmp_lt_u32_e32 vcc, 3, v6
	;; [unrolled: 5-line block ×4, first 2 shown]
	s_nop 0
	v_mov_b32_dpp v9, v6 row_bcast:15 row_mask:0xf bank_mask:0xf
	v_and_b32_e32 v8, v8, v9
	v_add_u32_e32 v6, v6, v8
	s_nop 1
	v_mov_b32_dpp v8, v6 row_bcast:31 row_mask:0xf bank_mask:0xf
	v_cndmask_b32_e32 v8, 0, v8, vcc
	v_add_u32_e32 v6, v6, v8
	v_cmp_eq_u32_e32 vcc, v7, v0
	s_and_saveexec_b64 s[0:1], vcc
	s_cbranch_execz .LBB25_2
; %bb.1:
	v_lshlrev_b32_e32 v7, 2, v5
	ds_write_b32 v7, v6
.LBB25_2:
	s_or_b64 exec, exec, s[0:1]
	v_cmp_gt_u32_e32 vcc, 4, v0
	s_waitcnt lgkmcnt(0)
	s_barrier
	s_and_saveexec_b64 s[0:1], vcc
	s_cbranch_execz .LBB25_4
; %bb.3:
	ds_read_b32 v7, v1
	v_and_b32_e32 v8, 3, v4
	v_cmp_ne_u32_e32 vcc, 0, v8
	s_waitcnt lgkmcnt(0)
	v_mov_b32_dpp v9, v7 row_shr:1 row_mask:0xf bank_mask:0xf
	v_cndmask_b32_e32 v9, 0, v9, vcc
	v_add_u32_e32 v7, v9, v7
	v_cmp_lt_u32_e32 vcc, 1, v8
	s_nop 0
	v_mov_b32_dpp v9, v7 row_shr:2 row_mask:0xf bank_mask:0xf
	v_cndmask_b32_e32 v8, 0, v9, vcc
	v_add_u32_e32 v7, v7, v8
	ds_write_b32 v1, v7
.LBB25_4:
	s_or_b64 exec, exec, s[0:1]
	v_cmp_lt_u32_e32 vcc, 63, v0
	s_waitcnt lgkmcnt(0)
	s_barrier
	s_waitcnt lgkmcnt(0)
                                        ; implicit-def: $vgpr7
	s_and_saveexec_b64 s[0:1], vcc
	s_cbranch_execz .LBB25_6
; %bb.5:
	v_lshl_add_u32 v5, v5, 2, -4
	ds_read_b32 v7, v5
	s_waitcnt lgkmcnt(0)
	v_add_u32_e32 v6, v7, v6
.LBB25_6:
	s_or_b64 exec, exec, s[0:1]
	v_add_u32_e32 v5, -1, v4
	v_and_b32_e32 v8, 64, v4
	v_cmp_lt_i32_e32 vcc, v5, v8
	v_cndmask_b32_e32 v5, v5, v4, vcc
	v_lshlrev_b32_e32 v5, 2, v5
	ds_bpermute_b32 v5, v5, v6
	v_cmp_eq_u32_e32 vcc, 0, v4
	s_add_u32 s0, s2, s4
	s_addc_u32 s1, s3, s5
	s_waitcnt lgkmcnt(0)
	v_cndmask_b32_e32 v4, v5, v7, vcc
	v_cmp_ne_u32_e32 vcc, 0, v0
	v_cndmask_b32_e32 v0, 0, v4, vcc
	v_add_u32_e32 v0, v0, v2
	v_add_u32_e32 v2, v0, v3
	s_barrier
	global_store_dword v1, v0, s[0:1]
	global_store_dword v1, v2, s[0:1] offset:1024
	s_endpgm
	.section	.rodata,"a",@progbits
	.p2align	6, 0x0
	.amdhsa_kernel _Z16operation_kernelIiLj256ELj2EL23memory_operation_method1E9operationIL16kernel_operation1EiLj2ELj256EEEvPT_S5_T3_
		.amdhsa_group_segment_fixed_size 16
		.amdhsa_private_segment_fixed_size 0
		.amdhsa_kernarg_size 20
		.amdhsa_user_sgpr_count 6
		.amdhsa_user_sgpr_private_segment_buffer 1
		.amdhsa_user_sgpr_dispatch_ptr 0
		.amdhsa_user_sgpr_queue_ptr 0
		.amdhsa_user_sgpr_kernarg_segment_ptr 1
		.amdhsa_user_sgpr_dispatch_id 0
		.amdhsa_user_sgpr_flat_scratch_init 0
		.amdhsa_user_sgpr_kernarg_preload_length 0
		.amdhsa_user_sgpr_kernarg_preload_offset 0
		.amdhsa_user_sgpr_private_segment_size 0
		.amdhsa_uses_dynamic_stack 0
		.amdhsa_system_sgpr_private_segment_wavefront_offset 0
		.amdhsa_system_sgpr_workgroup_id_x 1
		.amdhsa_system_sgpr_workgroup_id_y 0
		.amdhsa_system_sgpr_workgroup_id_z 0
		.amdhsa_system_sgpr_workgroup_info 0
		.amdhsa_system_vgpr_workitem_id 0
		.amdhsa_next_free_vgpr 11
		.amdhsa_next_free_sgpr 7
		.amdhsa_accum_offset 12
		.amdhsa_reserve_vcc 1
		.amdhsa_reserve_flat_scratch 0
		.amdhsa_float_round_mode_32 0
		.amdhsa_float_round_mode_16_64 0
		.amdhsa_float_denorm_mode_32 3
		.amdhsa_float_denorm_mode_16_64 3
		.amdhsa_dx10_clamp 1
		.amdhsa_ieee_mode 1
		.amdhsa_fp16_overflow 0
		.amdhsa_tg_split 0
		.amdhsa_exception_fp_ieee_invalid_op 0
		.amdhsa_exception_fp_denorm_src 0
		.amdhsa_exception_fp_ieee_div_zero 0
		.amdhsa_exception_fp_ieee_overflow 0
		.amdhsa_exception_fp_ieee_underflow 0
		.amdhsa_exception_fp_ieee_inexact 0
		.amdhsa_exception_int_div_zero 0
	.end_amdhsa_kernel
	.section	.text._Z16operation_kernelIiLj256ELj2EL23memory_operation_method1E9operationIL16kernel_operation1EiLj2ELj256EEEvPT_S5_T3_,"axG",@progbits,_Z16operation_kernelIiLj256ELj2EL23memory_operation_method1E9operationIL16kernel_operation1EiLj2ELj256EEEvPT_S5_T3_,comdat
.Lfunc_end25:
	.size	_Z16operation_kernelIiLj256ELj2EL23memory_operation_method1E9operationIL16kernel_operation1EiLj2ELj256EEEvPT_S5_T3_, .Lfunc_end25-_Z16operation_kernelIiLj256ELj2EL23memory_operation_method1E9operationIL16kernel_operation1EiLj2ELj256EEEvPT_S5_T3_
                                        ; -- End function
	.section	.AMDGPU.csdata,"",@progbits
; Kernel info:
; codeLenInByte = 500
; NumSgprs: 11
; NumVgprs: 11
; NumAgprs: 0
; TotalNumVgprs: 11
; ScratchSize: 0
; MemoryBound: 0
; FloatMode: 240
; IeeeMode: 1
; LDSByteSize: 16 bytes/workgroup (compile time only)
; SGPRBlocks: 1
; VGPRBlocks: 1
; NumSGPRsForWavesPerEU: 11
; NumVGPRsForWavesPerEU: 11
; AccumOffset: 12
; Occupancy: 8
; WaveLimiterHint : 1
; COMPUTE_PGM_RSRC2:SCRATCH_EN: 0
; COMPUTE_PGM_RSRC2:USER_SGPR: 6
; COMPUTE_PGM_RSRC2:TRAP_HANDLER: 0
; COMPUTE_PGM_RSRC2:TGID_X_EN: 1
; COMPUTE_PGM_RSRC2:TGID_Y_EN: 0
; COMPUTE_PGM_RSRC2:TGID_Z_EN: 0
; COMPUTE_PGM_RSRC2:TIDIG_COMP_CNT: 0
; COMPUTE_PGM_RSRC3_GFX90A:ACCUM_OFFSET: 2
; COMPUTE_PGM_RSRC3_GFX90A:TG_SPLIT: 0
	.section	.text._Z16operation_kernelIiLj256ELj4EL23memory_operation_method1E9operationIL16kernel_operation1EiLj4ELj256EEEvPT_S5_T3_,"axG",@progbits,_Z16operation_kernelIiLj256ELj4EL23memory_operation_method1E9operationIL16kernel_operation1EiLj4ELj256EEEvPT_S5_T3_,comdat
	.protected	_Z16operation_kernelIiLj256ELj4EL23memory_operation_method1E9operationIL16kernel_operation1EiLj4ELj256EEEvPT_S5_T3_ ; -- Begin function _Z16operation_kernelIiLj256ELj4EL23memory_operation_method1E9operationIL16kernel_operation1EiLj4ELj256EEEvPT_S5_T3_
	.globl	_Z16operation_kernelIiLj256ELj4EL23memory_operation_method1E9operationIL16kernel_operation1EiLj4ELj256EEEvPT_S5_T3_
	.p2align	8
	.type	_Z16operation_kernelIiLj256ELj4EL23memory_operation_method1E9operationIL16kernel_operation1EiLj4ELj256EEEvPT_S5_T3_,@function
_Z16operation_kernelIiLj256ELj4EL23memory_operation_method1E9operationIL16kernel_operation1EiLj4ELj256EEEvPT_S5_T3_: ; @_Z16operation_kernelIiLj256ELj4EL23memory_operation_method1E9operationIL16kernel_operation1EiLj4ELj256EEEvPT_S5_T3_
; %bb.0:
	s_load_dwordx4 s[0:3], s[4:5], 0x0
	s_lshl_b32 s4, s6, 10
	s_mov_b32 s5, 0
	s_lshl_b64 s[4:5], s[4:5], 2
	v_lshlrev_b32_e32 v1, 2, v0
	s_waitcnt lgkmcnt(0)
	s_add_u32 s0, s0, s4
	s_addc_u32 s1, s1, s5
	global_load_dword v2, v1, s[0:1]
	global_load_dword v3, v1, s[0:1] offset:1024
	global_load_dword v4, v1, s[0:1] offset:2048
	;; [unrolled: 1-line block ×3, first 2 shown]
	v_mbcnt_lo_u32_b32 v6, -1, 0
	v_mbcnt_hi_u32_b32 v6, -1, v6
	v_and_b32_e32 v8, 15, v6
	v_cmp_ne_u32_e32 vcc, 0, v8
	v_bfe_i32 v10, v6, 4, 1
	v_or_b32_e32 v9, 63, v0
	v_lshrrev_b32_e32 v7, 6, v0
	s_barrier
	s_waitcnt vmcnt(2)
	v_add_u32_e32 v11, v3, v2
	s_waitcnt vmcnt(0)
	v_add3_u32 v11, v11, v4, v5
	s_nop 1
	v_mov_b32_dpp v12, v11 row_shr:1 row_mask:0xf bank_mask:0xf
	v_cndmask_b32_e32 v12, 0, v12, vcc
	v_add_u32_e32 v11, v12, v11
	v_cmp_lt_u32_e32 vcc, 1, v8
	s_nop 0
	v_mov_b32_dpp v12, v11 row_shr:2 row_mask:0xf bank_mask:0xf
	v_cndmask_b32_e32 v12, 0, v12, vcc
	v_add_u32_e32 v11, v11, v12
	v_cmp_lt_u32_e32 vcc, 3, v8
	;; [unrolled: 5-line block ×4, first 2 shown]
	s_nop 0
	v_mov_b32_dpp v11, v8 row_bcast:15 row_mask:0xf bank_mask:0xf
	v_and_b32_e32 v10, v10, v11
	v_add_u32_e32 v8, v8, v10
	s_nop 1
	v_mov_b32_dpp v10, v8 row_bcast:31 row_mask:0xf bank_mask:0xf
	v_cndmask_b32_e32 v10, 0, v10, vcc
	v_add_u32_e32 v8, v8, v10
	v_cmp_eq_u32_e32 vcc, v9, v0
	s_and_saveexec_b64 s[0:1], vcc
	s_cbranch_execz .LBB26_2
; %bb.1:
	v_lshlrev_b32_e32 v9, 2, v7
	ds_write_b32 v9, v8
.LBB26_2:
	s_or_b64 exec, exec, s[0:1]
	v_cmp_gt_u32_e32 vcc, 4, v0
	s_waitcnt lgkmcnt(0)
	s_barrier
	s_and_saveexec_b64 s[0:1], vcc
	s_cbranch_execz .LBB26_4
; %bb.3:
	ds_read_b32 v9, v1
	v_and_b32_e32 v10, 3, v6
	v_cmp_ne_u32_e32 vcc, 0, v10
	s_waitcnt lgkmcnt(0)
	v_mov_b32_dpp v11, v9 row_shr:1 row_mask:0xf bank_mask:0xf
	v_cndmask_b32_e32 v11, 0, v11, vcc
	v_add_u32_e32 v9, v11, v9
	v_cmp_lt_u32_e32 vcc, 1, v10
	s_nop 0
	v_mov_b32_dpp v11, v9 row_shr:2 row_mask:0xf bank_mask:0xf
	v_cndmask_b32_e32 v10, 0, v11, vcc
	v_add_u32_e32 v9, v9, v10
	ds_write_b32 v1, v9
.LBB26_4:
	s_or_b64 exec, exec, s[0:1]
	v_cmp_lt_u32_e32 vcc, 63, v0
	s_waitcnt lgkmcnt(0)
	s_barrier
	s_waitcnt lgkmcnt(0)
                                        ; implicit-def: $vgpr9
	s_and_saveexec_b64 s[0:1], vcc
	s_cbranch_execz .LBB26_6
; %bb.5:
	v_lshl_add_u32 v7, v7, 2, -4
	ds_read_b32 v9, v7
	s_waitcnt lgkmcnt(0)
	v_add_u32_e32 v8, v9, v8
.LBB26_6:
	s_or_b64 exec, exec, s[0:1]
	v_add_u32_e32 v7, -1, v6
	v_and_b32_e32 v10, 64, v6
	v_cmp_lt_i32_e32 vcc, v7, v10
	v_cndmask_b32_e32 v7, v7, v6, vcc
	v_lshlrev_b32_e32 v7, 2, v7
	ds_bpermute_b32 v7, v7, v8
	v_cmp_eq_u32_e32 vcc, 0, v6
	s_add_u32 s0, s2, s4
	s_addc_u32 s1, s3, s5
	s_waitcnt lgkmcnt(0)
	v_cndmask_b32_e32 v6, v7, v9, vcc
	v_cmp_ne_u32_e32 vcc, 0, v0
	v_cndmask_b32_e32 v0, 0, v6, vcc
	v_add_u32_e32 v0, v0, v2
	v_add_u32_e32 v2, v0, v3
	;; [unrolled: 1-line block ×4, first 2 shown]
	s_barrier
	global_store_dword v1, v0, s[0:1]
	global_store_dword v1, v2, s[0:1] offset:1024
	global_store_dword v1, v3, s[0:1] offset:2048
	;; [unrolled: 1-line block ×3, first 2 shown]
	s_endpgm
	.section	.rodata,"a",@progbits
	.p2align	6, 0x0
	.amdhsa_kernel _Z16operation_kernelIiLj256ELj4EL23memory_operation_method1E9operationIL16kernel_operation1EiLj4ELj256EEEvPT_S5_T3_
		.amdhsa_group_segment_fixed_size 16
		.amdhsa_private_segment_fixed_size 0
		.amdhsa_kernarg_size 20
		.amdhsa_user_sgpr_count 6
		.amdhsa_user_sgpr_private_segment_buffer 1
		.amdhsa_user_sgpr_dispatch_ptr 0
		.amdhsa_user_sgpr_queue_ptr 0
		.amdhsa_user_sgpr_kernarg_segment_ptr 1
		.amdhsa_user_sgpr_dispatch_id 0
		.amdhsa_user_sgpr_flat_scratch_init 0
		.amdhsa_user_sgpr_kernarg_preload_length 0
		.amdhsa_user_sgpr_kernarg_preload_offset 0
		.amdhsa_user_sgpr_private_segment_size 0
		.amdhsa_uses_dynamic_stack 0
		.amdhsa_system_sgpr_private_segment_wavefront_offset 0
		.amdhsa_system_sgpr_workgroup_id_x 1
		.amdhsa_system_sgpr_workgroup_id_y 0
		.amdhsa_system_sgpr_workgroup_id_z 0
		.amdhsa_system_sgpr_workgroup_info 0
		.amdhsa_system_vgpr_workitem_id 0
		.amdhsa_next_free_vgpr 13
		.amdhsa_next_free_sgpr 7
		.amdhsa_accum_offset 16
		.amdhsa_reserve_vcc 1
		.amdhsa_reserve_flat_scratch 0
		.amdhsa_float_round_mode_32 0
		.amdhsa_float_round_mode_16_64 0
		.amdhsa_float_denorm_mode_32 3
		.amdhsa_float_denorm_mode_16_64 3
		.amdhsa_dx10_clamp 1
		.amdhsa_ieee_mode 1
		.amdhsa_fp16_overflow 0
		.amdhsa_tg_split 0
		.amdhsa_exception_fp_ieee_invalid_op 0
		.amdhsa_exception_fp_denorm_src 0
		.amdhsa_exception_fp_ieee_div_zero 0
		.amdhsa_exception_fp_ieee_overflow 0
		.amdhsa_exception_fp_ieee_underflow 0
		.amdhsa_exception_fp_ieee_inexact 0
		.amdhsa_exception_int_div_zero 0
	.end_amdhsa_kernel
	.section	.text._Z16operation_kernelIiLj256ELj4EL23memory_operation_method1E9operationIL16kernel_operation1EiLj4ELj256EEEvPT_S5_T3_,"axG",@progbits,_Z16operation_kernelIiLj256ELj4EL23memory_operation_method1E9operationIL16kernel_operation1EiLj4ELj256EEEvPT_S5_T3_,comdat
.Lfunc_end26:
	.size	_Z16operation_kernelIiLj256ELj4EL23memory_operation_method1E9operationIL16kernel_operation1EiLj4ELj256EEEvPT_S5_T3_, .Lfunc_end26-_Z16operation_kernelIiLj256ELj4EL23memory_operation_method1E9operationIL16kernel_operation1EiLj4ELj256EEEvPT_S5_T3_
                                        ; -- End function
	.section	.AMDGPU.csdata,"",@progbits
; Kernel info:
; codeLenInByte = 552
; NumSgprs: 11
; NumVgprs: 13
; NumAgprs: 0
; TotalNumVgprs: 13
; ScratchSize: 0
; MemoryBound: 0
; FloatMode: 240
; IeeeMode: 1
; LDSByteSize: 16 bytes/workgroup (compile time only)
; SGPRBlocks: 1
; VGPRBlocks: 1
; NumSGPRsForWavesPerEU: 11
; NumVGPRsForWavesPerEU: 13
; AccumOffset: 16
; Occupancy: 8
; WaveLimiterHint : 1
; COMPUTE_PGM_RSRC2:SCRATCH_EN: 0
; COMPUTE_PGM_RSRC2:USER_SGPR: 6
; COMPUTE_PGM_RSRC2:TRAP_HANDLER: 0
; COMPUTE_PGM_RSRC2:TGID_X_EN: 1
; COMPUTE_PGM_RSRC2:TGID_Y_EN: 0
; COMPUTE_PGM_RSRC2:TGID_Z_EN: 0
; COMPUTE_PGM_RSRC2:TIDIG_COMP_CNT: 0
; COMPUTE_PGM_RSRC3_GFX90A:ACCUM_OFFSET: 3
; COMPUTE_PGM_RSRC3_GFX90A:TG_SPLIT: 0
	.section	.text._Z16operation_kernelIiLj256ELj8EL23memory_operation_method1E9operationIL16kernel_operation1EiLj8ELj256EEEvPT_S5_T3_,"axG",@progbits,_Z16operation_kernelIiLj256ELj8EL23memory_operation_method1E9operationIL16kernel_operation1EiLj8ELj256EEEvPT_S5_T3_,comdat
	.protected	_Z16operation_kernelIiLj256ELj8EL23memory_operation_method1E9operationIL16kernel_operation1EiLj8ELj256EEEvPT_S5_T3_ ; -- Begin function _Z16operation_kernelIiLj256ELj8EL23memory_operation_method1E9operationIL16kernel_operation1EiLj8ELj256EEEvPT_S5_T3_
	.globl	_Z16operation_kernelIiLj256ELj8EL23memory_operation_method1E9operationIL16kernel_operation1EiLj8ELj256EEEvPT_S5_T3_
	.p2align	8
	.type	_Z16operation_kernelIiLj256ELj8EL23memory_operation_method1E9operationIL16kernel_operation1EiLj8ELj256EEEvPT_S5_T3_,@function
_Z16operation_kernelIiLj256ELj8EL23memory_operation_method1E9operationIL16kernel_operation1EiLj8ELj256EEEvPT_S5_T3_: ; @_Z16operation_kernelIiLj256ELj8EL23memory_operation_method1E9operationIL16kernel_operation1EiLj8ELj256EEEvPT_S5_T3_
; %bb.0:
	s_load_dwordx4 s[0:3], s[4:5], 0x0
	s_lshl_b32 s4, s6, 11
	s_mov_b32 s5, 0
	s_lshl_b64 s[4:5], s[4:5], 2
	v_lshlrev_b32_e32 v1, 2, v0
	s_waitcnt lgkmcnt(0)
	s_add_u32 s0, s0, s4
	s_addc_u32 s1, s1, s5
	v_mov_b32_e32 v2, s1
	v_add_co_u32_e32 v3, vcc, s0, v1
	v_addc_co_u32_e32 v2, vcc, 0, v2, vcc
	s_movk_i32 s6, 0x1000
	v_add_co_u32_e32 v10, vcc, s6, v3
	v_addc_co_u32_e32 v11, vcc, 0, v2, vcc
	global_load_dword v2, v1, s[0:1]
	global_load_dword v3, v1, s[0:1] offset:1024
	global_load_dword v4, v1, s[0:1] offset:2048
	;; [unrolled: 1-line block ×3, first 2 shown]
	global_load_dword v6, v[10:11], off
	global_load_dword v7, v[10:11], off offset:1024
	global_load_dword v8, v[10:11], off offset:2048
	;; [unrolled: 1-line block ×3, first 2 shown]
	v_mbcnt_lo_u32_b32 v10, -1, 0
	v_mbcnt_hi_u32_b32 v10, -1, v10
	v_and_b32_e32 v12, 15, v10
	v_cmp_ne_u32_e32 vcc, 0, v12
	v_bfe_i32 v14, v10, 4, 1
	v_or_b32_e32 v13, 63, v0
	v_lshrrev_b32_e32 v11, 6, v0
	s_barrier
	s_waitcnt vmcnt(6)
	v_add_u32_e32 v15, v3, v2
	s_waitcnt vmcnt(4)
	v_add3_u32 v15, v15, v4, v5
	s_waitcnt vmcnt(2)
	v_add3_u32 v15, v15, v6, v7
	s_waitcnt vmcnt(0)
	v_add3_u32 v15, v15, v8, v9
	s_nop 1
	v_mov_b32_dpp v16, v15 row_shr:1 row_mask:0xf bank_mask:0xf
	v_cndmask_b32_e32 v16, 0, v16, vcc
	v_add_u32_e32 v15, v16, v15
	v_cmp_lt_u32_e32 vcc, 1, v12
	s_nop 0
	v_mov_b32_dpp v16, v15 row_shr:2 row_mask:0xf bank_mask:0xf
	v_cndmask_b32_e32 v16, 0, v16, vcc
	v_add_u32_e32 v15, v15, v16
	v_cmp_lt_u32_e32 vcc, 3, v12
	;; [unrolled: 5-line block ×4, first 2 shown]
	s_nop 0
	v_mov_b32_dpp v15, v12 row_bcast:15 row_mask:0xf bank_mask:0xf
	v_and_b32_e32 v14, v14, v15
	v_add_u32_e32 v12, v12, v14
	s_nop 1
	v_mov_b32_dpp v14, v12 row_bcast:31 row_mask:0xf bank_mask:0xf
	v_cndmask_b32_e32 v14, 0, v14, vcc
	v_add_u32_e32 v12, v12, v14
	v_cmp_eq_u32_e32 vcc, v13, v0
	s_and_saveexec_b64 s[0:1], vcc
	s_cbranch_execz .LBB27_2
; %bb.1:
	v_lshlrev_b32_e32 v13, 2, v11
	ds_write_b32 v13, v12
.LBB27_2:
	s_or_b64 exec, exec, s[0:1]
	v_cmp_gt_u32_e32 vcc, 4, v0
	s_waitcnt lgkmcnt(0)
	s_barrier
	s_and_saveexec_b64 s[0:1], vcc
	s_cbranch_execz .LBB27_4
; %bb.3:
	ds_read_b32 v13, v1
	v_and_b32_e32 v14, 3, v10
	v_cmp_ne_u32_e32 vcc, 0, v14
	s_waitcnt lgkmcnt(0)
	v_mov_b32_dpp v15, v13 row_shr:1 row_mask:0xf bank_mask:0xf
	v_cndmask_b32_e32 v15, 0, v15, vcc
	v_add_u32_e32 v13, v15, v13
	v_cmp_lt_u32_e32 vcc, 1, v14
	s_nop 0
	v_mov_b32_dpp v15, v13 row_shr:2 row_mask:0xf bank_mask:0xf
	v_cndmask_b32_e32 v14, 0, v15, vcc
	v_add_u32_e32 v13, v13, v14
	ds_write_b32 v1, v13
.LBB27_4:
	s_or_b64 exec, exec, s[0:1]
	v_cmp_lt_u32_e32 vcc, 63, v0
	s_waitcnt lgkmcnt(0)
	s_barrier
	s_waitcnt lgkmcnt(0)
                                        ; implicit-def: $vgpr13
	s_and_saveexec_b64 s[0:1], vcc
	s_cbranch_execz .LBB27_6
; %bb.5:
	v_lshl_add_u32 v11, v11, 2, -4
	ds_read_b32 v13, v11
	s_waitcnt lgkmcnt(0)
	v_add_u32_e32 v12, v13, v12
.LBB27_6:
	s_or_b64 exec, exec, s[0:1]
	v_add_u32_e32 v11, -1, v10
	v_and_b32_e32 v14, 64, v10
	v_cmp_lt_i32_e32 vcc, v11, v14
	v_cndmask_b32_e32 v11, v11, v10, vcc
	v_lshlrev_b32_e32 v11, 2, v11
	ds_bpermute_b32 v11, v11, v12
	v_cmp_eq_u32_e32 vcc, 0, v10
	s_add_u32 s0, s2, s4
	s_addc_u32 s1, s3, s5
	s_waitcnt lgkmcnt(0)
	v_cndmask_b32_e32 v10, v11, v13, vcc
	v_cmp_ne_u32_e32 vcc, 0, v0
	v_cndmask_b32_e32 v0, 0, v10, vcc
	v_add_u32_e32 v0, v0, v2
	v_add_u32_e32 v2, v0, v3
	;; [unrolled: 1-line block ×8, first 2 shown]
	v_mov_b32_e32 v9, s1
	v_add_co_u32_e32 v10, vcc, s0, v1
	v_addc_co_u32_e32 v9, vcc, 0, v9, vcc
	s_barrier
	global_store_dword v1, v0, s[0:1]
	global_store_dword v1, v2, s[0:1] offset:1024
	global_store_dword v1, v3, s[0:1] offset:2048
	;; [unrolled: 1-line block ×3, first 2 shown]
	v_add_co_u32_e32 v0, vcc, 0x1000, v10
	v_addc_co_u32_e32 v1, vcc, 0, v9, vcc
	global_store_dword v[0:1], v5, off
	global_store_dword v[0:1], v6, off offset:1024
	global_store_dword v[0:1], v7, off offset:2048
	;; [unrolled: 1-line block ×3, first 2 shown]
	s_endpgm
	.section	.rodata,"a",@progbits
	.p2align	6, 0x0
	.amdhsa_kernel _Z16operation_kernelIiLj256ELj8EL23memory_operation_method1E9operationIL16kernel_operation1EiLj8ELj256EEEvPT_S5_T3_
		.amdhsa_group_segment_fixed_size 16
		.amdhsa_private_segment_fixed_size 0
		.amdhsa_kernarg_size 20
		.amdhsa_user_sgpr_count 6
		.amdhsa_user_sgpr_private_segment_buffer 1
		.amdhsa_user_sgpr_dispatch_ptr 0
		.amdhsa_user_sgpr_queue_ptr 0
		.amdhsa_user_sgpr_kernarg_segment_ptr 1
		.amdhsa_user_sgpr_dispatch_id 0
		.amdhsa_user_sgpr_flat_scratch_init 0
		.amdhsa_user_sgpr_kernarg_preload_length 0
		.amdhsa_user_sgpr_kernarg_preload_offset 0
		.amdhsa_user_sgpr_private_segment_size 0
		.amdhsa_uses_dynamic_stack 0
		.amdhsa_system_sgpr_private_segment_wavefront_offset 0
		.amdhsa_system_sgpr_workgroup_id_x 1
		.amdhsa_system_sgpr_workgroup_id_y 0
		.amdhsa_system_sgpr_workgroup_id_z 0
		.amdhsa_system_sgpr_workgroup_info 0
		.amdhsa_system_vgpr_workitem_id 0
		.amdhsa_next_free_vgpr 17
		.amdhsa_next_free_sgpr 7
		.amdhsa_accum_offset 20
		.amdhsa_reserve_vcc 1
		.amdhsa_reserve_flat_scratch 0
		.amdhsa_float_round_mode_32 0
		.amdhsa_float_round_mode_16_64 0
		.amdhsa_float_denorm_mode_32 3
		.amdhsa_float_denorm_mode_16_64 3
		.amdhsa_dx10_clamp 1
		.amdhsa_ieee_mode 1
		.amdhsa_fp16_overflow 0
		.amdhsa_tg_split 0
		.amdhsa_exception_fp_ieee_invalid_op 0
		.amdhsa_exception_fp_denorm_src 0
		.amdhsa_exception_fp_ieee_div_zero 0
		.amdhsa_exception_fp_ieee_overflow 0
		.amdhsa_exception_fp_ieee_underflow 0
		.amdhsa_exception_fp_ieee_inexact 0
		.amdhsa_exception_int_div_zero 0
	.end_amdhsa_kernel
	.section	.text._Z16operation_kernelIiLj256ELj8EL23memory_operation_method1E9operationIL16kernel_operation1EiLj8ELj256EEEvPT_S5_T3_,"axG",@progbits,_Z16operation_kernelIiLj256ELj8EL23memory_operation_method1E9operationIL16kernel_operation1EiLj8ELj256EEEvPT_S5_T3_,comdat
.Lfunc_end27:
	.size	_Z16operation_kernelIiLj256ELj8EL23memory_operation_method1E9operationIL16kernel_operation1EiLj8ELj256EEEvPT_S5_T3_, .Lfunc_end27-_Z16operation_kernelIiLj256ELj8EL23memory_operation_method1E9operationIL16kernel_operation1EiLj8ELj256EEEvPT_S5_T3_
                                        ; -- End function
	.section	.AMDGPU.csdata,"",@progbits
; Kernel info:
; codeLenInByte = 704
; NumSgprs: 11
; NumVgprs: 17
; NumAgprs: 0
; TotalNumVgprs: 17
; ScratchSize: 0
; MemoryBound: 0
; FloatMode: 240
; IeeeMode: 1
; LDSByteSize: 16 bytes/workgroup (compile time only)
; SGPRBlocks: 1
; VGPRBlocks: 2
; NumSGPRsForWavesPerEU: 11
; NumVGPRsForWavesPerEU: 17
; AccumOffset: 20
; Occupancy: 8
; WaveLimiterHint : 1
; COMPUTE_PGM_RSRC2:SCRATCH_EN: 0
; COMPUTE_PGM_RSRC2:USER_SGPR: 6
; COMPUTE_PGM_RSRC2:TRAP_HANDLER: 0
; COMPUTE_PGM_RSRC2:TGID_X_EN: 1
; COMPUTE_PGM_RSRC2:TGID_Y_EN: 0
; COMPUTE_PGM_RSRC2:TGID_Z_EN: 0
; COMPUTE_PGM_RSRC2:TIDIG_COMP_CNT: 0
; COMPUTE_PGM_RSRC3_GFX90A:ACCUM_OFFSET: 4
; COMPUTE_PGM_RSRC3_GFX90A:TG_SPLIT: 0
	.section	.text._Z16operation_kernelIiLj256ELj1EL23memory_operation_method2E9operationIL16kernel_operation1EiLj1ELj256EEEvPT_S5_T3_,"axG",@progbits,_Z16operation_kernelIiLj256ELj1EL23memory_operation_method2E9operationIL16kernel_operation1EiLj1ELj256EEEvPT_S5_T3_,comdat
	.protected	_Z16operation_kernelIiLj256ELj1EL23memory_operation_method2E9operationIL16kernel_operation1EiLj1ELj256EEEvPT_S5_T3_ ; -- Begin function _Z16operation_kernelIiLj256ELj1EL23memory_operation_method2E9operationIL16kernel_operation1EiLj1ELj256EEEvPT_S5_T3_
	.globl	_Z16operation_kernelIiLj256ELj1EL23memory_operation_method2E9operationIL16kernel_operation1EiLj1ELj256EEEvPT_S5_T3_
	.p2align	8
	.type	_Z16operation_kernelIiLj256ELj1EL23memory_operation_method2E9operationIL16kernel_operation1EiLj1ELj256EEEvPT_S5_T3_,@function
_Z16operation_kernelIiLj256ELj1EL23memory_operation_method2E9operationIL16kernel_operation1EiLj1ELj256EEEvPT_S5_T3_: ; @_Z16operation_kernelIiLj256ELj1EL23memory_operation_method2E9operationIL16kernel_operation1EiLj1ELj256EEEvPT_S5_T3_
; %bb.0:
	s_load_dwordx4 s[0:3], s[4:5], 0x0
	s_lshl_b32 s4, s6, 8
	s_mov_b32 s5, 0
	s_lshl_b64 s[4:5], s[4:5], 2
	v_lshlrev_b32_e32 v1, 2, v0
	s_waitcnt lgkmcnt(0)
	s_add_u32 s0, s0, s4
	s_addc_u32 s1, s1, s5
	global_load_dword v4, v1, s[0:1]
	v_mbcnt_lo_u32_b32 v2, -1, 0
	v_mbcnt_hi_u32_b32 v2, -1, v2
	v_and_b32_e32 v6, 15, v2
	v_cmp_ne_u32_e32 vcc, 0, v6
	v_bfe_i32 v7, v2, 4, 1
	v_or_b32_e32 v5, 63, v0
	v_lshrrev_b32_e32 v3, 6, v0
	s_barrier
	s_waitcnt vmcnt(0)
	v_mov_b32_dpp v8, v4 row_shr:1 row_mask:0xf bank_mask:0xf
	v_cndmask_b32_e32 v8, 0, v8, vcc
	v_add_u32_e32 v4, v8, v4
	v_cmp_lt_u32_e32 vcc, 1, v6
	s_nop 0
	v_mov_b32_dpp v8, v4 row_shr:2 row_mask:0xf bank_mask:0xf
	v_cndmask_b32_e32 v8, 0, v8, vcc
	v_add_u32_e32 v4, v4, v8
	v_cmp_lt_u32_e32 vcc, 3, v6
	s_nop 0
	;; [unrolled: 5-line block ×4, first 2 shown]
	v_mov_b32_dpp v6, v4 row_bcast:15 row_mask:0xf bank_mask:0xf
	v_and_b32_e32 v6, v7, v6
	v_add_u32_e32 v4, v4, v6
	s_nop 1
	v_mov_b32_dpp v6, v4 row_bcast:31 row_mask:0xf bank_mask:0xf
	v_cndmask_b32_e32 v6, 0, v6, vcc
	v_add_u32_e32 v4, v4, v6
	v_cmp_eq_u32_e32 vcc, v5, v0
	s_and_saveexec_b64 s[0:1], vcc
	s_cbranch_execz .LBB28_2
; %bb.1:
	v_lshlrev_b32_e32 v5, 2, v3
	ds_write_b32 v5, v4
.LBB28_2:
	s_or_b64 exec, exec, s[0:1]
	v_cmp_gt_u32_e32 vcc, 4, v0
	s_waitcnt lgkmcnt(0)
	s_barrier
	s_and_saveexec_b64 s[0:1], vcc
	s_cbranch_execz .LBB28_4
; %bb.3:
	ds_read_b32 v5, v1
	v_and_b32_e32 v2, 3, v2
	v_cmp_ne_u32_e32 vcc, 0, v2
	s_waitcnt lgkmcnt(0)
	v_mov_b32_dpp v6, v5 row_shr:1 row_mask:0xf bank_mask:0xf
	v_cndmask_b32_e32 v6, 0, v6, vcc
	v_add_u32_e32 v5, v6, v5
	v_cmp_lt_u32_e32 vcc, 1, v2
	s_nop 0
	v_mov_b32_dpp v6, v5 row_shr:2 row_mask:0xf bank_mask:0xf
	v_cndmask_b32_e32 v2, 0, v6, vcc
	v_add_u32_e32 v2, v5, v2
	ds_write_b32 v1, v2
.LBB28_4:
	s_or_b64 exec, exec, s[0:1]
	v_cmp_lt_u32_e32 vcc, 63, v0
	s_waitcnt lgkmcnt(0)
	s_barrier
	s_and_saveexec_b64 s[0:1], vcc
	s_cbranch_execz .LBB28_6
; %bb.5:
	v_lshl_add_u32 v0, v3, 2, -4
	ds_read_b32 v0, v0
	s_waitcnt lgkmcnt(0)
	v_add_u32_e32 v4, v0, v4
.LBB28_6:
	s_or_b64 exec, exec, s[0:1]
	s_add_u32 s0, s2, s4
	s_addc_u32 s1, s3, s5
	s_barrier
	global_store_dword v1, v4, s[0:1]
	s_endpgm
	.section	.rodata,"a",@progbits
	.p2align	6, 0x0
	.amdhsa_kernel _Z16operation_kernelIiLj256ELj1EL23memory_operation_method2E9operationIL16kernel_operation1EiLj1ELj256EEEvPT_S5_T3_
		.amdhsa_group_segment_fixed_size 16
		.amdhsa_private_segment_fixed_size 0
		.amdhsa_kernarg_size 20
		.amdhsa_user_sgpr_count 6
		.amdhsa_user_sgpr_private_segment_buffer 1
		.amdhsa_user_sgpr_dispatch_ptr 0
		.amdhsa_user_sgpr_queue_ptr 0
		.amdhsa_user_sgpr_kernarg_segment_ptr 1
		.amdhsa_user_sgpr_dispatch_id 0
		.amdhsa_user_sgpr_flat_scratch_init 0
		.amdhsa_user_sgpr_kernarg_preload_length 0
		.amdhsa_user_sgpr_kernarg_preload_offset 0
		.amdhsa_user_sgpr_private_segment_size 0
		.amdhsa_uses_dynamic_stack 0
		.amdhsa_system_sgpr_private_segment_wavefront_offset 0
		.amdhsa_system_sgpr_workgroup_id_x 1
		.amdhsa_system_sgpr_workgroup_id_y 0
		.amdhsa_system_sgpr_workgroup_id_z 0
		.amdhsa_system_sgpr_workgroup_info 0
		.amdhsa_system_vgpr_workitem_id 0
		.amdhsa_next_free_vgpr 9
		.amdhsa_next_free_sgpr 7
		.amdhsa_accum_offset 12
		.amdhsa_reserve_vcc 1
		.amdhsa_reserve_flat_scratch 0
		.amdhsa_float_round_mode_32 0
		.amdhsa_float_round_mode_16_64 0
		.amdhsa_float_denorm_mode_32 3
		.amdhsa_float_denorm_mode_16_64 3
		.amdhsa_dx10_clamp 1
		.amdhsa_ieee_mode 1
		.amdhsa_fp16_overflow 0
		.amdhsa_tg_split 0
		.amdhsa_exception_fp_ieee_invalid_op 0
		.amdhsa_exception_fp_denorm_src 0
		.amdhsa_exception_fp_ieee_div_zero 0
		.amdhsa_exception_fp_ieee_overflow 0
		.amdhsa_exception_fp_ieee_underflow 0
		.amdhsa_exception_fp_ieee_inexact 0
		.amdhsa_exception_int_div_zero 0
	.end_amdhsa_kernel
	.section	.text._Z16operation_kernelIiLj256ELj1EL23memory_operation_method2E9operationIL16kernel_operation1EiLj1ELj256EEEvPT_S5_T3_,"axG",@progbits,_Z16operation_kernelIiLj256ELj1EL23memory_operation_method2E9operationIL16kernel_operation1EiLj1ELj256EEEvPT_S5_T3_,comdat
.Lfunc_end28:
	.size	_Z16operation_kernelIiLj256ELj1EL23memory_operation_method2E9operationIL16kernel_operation1EiLj1ELj256EEEvPT_S5_T3_, .Lfunc_end28-_Z16operation_kernelIiLj256ELj1EL23memory_operation_method2E9operationIL16kernel_operation1EiLj1ELj256EEEvPT_S5_T3_
                                        ; -- End function
	.section	.AMDGPU.csdata,"",@progbits
; Kernel info:
; codeLenInByte = 416
; NumSgprs: 11
; NumVgprs: 9
; NumAgprs: 0
; TotalNumVgprs: 9
; ScratchSize: 0
; MemoryBound: 0
; FloatMode: 240
; IeeeMode: 1
; LDSByteSize: 16 bytes/workgroup (compile time only)
; SGPRBlocks: 1
; VGPRBlocks: 1
; NumSGPRsForWavesPerEU: 11
; NumVGPRsForWavesPerEU: 9
; AccumOffset: 12
; Occupancy: 8
; WaveLimiterHint : 0
; COMPUTE_PGM_RSRC2:SCRATCH_EN: 0
; COMPUTE_PGM_RSRC2:USER_SGPR: 6
; COMPUTE_PGM_RSRC2:TRAP_HANDLER: 0
; COMPUTE_PGM_RSRC2:TGID_X_EN: 1
; COMPUTE_PGM_RSRC2:TGID_Y_EN: 0
; COMPUTE_PGM_RSRC2:TGID_Z_EN: 0
; COMPUTE_PGM_RSRC2:TIDIG_COMP_CNT: 0
; COMPUTE_PGM_RSRC3_GFX90A:ACCUM_OFFSET: 2
; COMPUTE_PGM_RSRC3_GFX90A:TG_SPLIT: 0
	.section	.text._Z16operation_kernelIiLj256ELj2EL23memory_operation_method2E9operationIL16kernel_operation1EiLj2ELj256EEEvPT_S5_T3_,"axG",@progbits,_Z16operation_kernelIiLj256ELj2EL23memory_operation_method2E9operationIL16kernel_operation1EiLj2ELj256EEEvPT_S5_T3_,comdat
	.protected	_Z16operation_kernelIiLj256ELj2EL23memory_operation_method2E9operationIL16kernel_operation1EiLj2ELj256EEEvPT_S5_T3_ ; -- Begin function _Z16operation_kernelIiLj256ELj2EL23memory_operation_method2E9operationIL16kernel_operation1EiLj2ELj256EEEvPT_S5_T3_
	.globl	_Z16operation_kernelIiLj256ELj2EL23memory_operation_method2E9operationIL16kernel_operation1EiLj2ELj256EEEvPT_S5_T3_
	.p2align	8
	.type	_Z16operation_kernelIiLj256ELj2EL23memory_operation_method2E9operationIL16kernel_operation1EiLj2ELj256EEEvPT_S5_T3_,@function
_Z16operation_kernelIiLj256ELj2EL23memory_operation_method2E9operationIL16kernel_operation1EiLj2ELj256EEEvPT_S5_T3_: ; @_Z16operation_kernelIiLj256ELj2EL23memory_operation_method2E9operationIL16kernel_operation1EiLj2ELj256EEEvPT_S5_T3_
; %bb.0:
	s_load_dwordx4 s[0:3], s[4:5], 0x0
	s_lshl_b32 s4, s6, 9
	s_mov_b32 s5, 0
	s_lshl_b64 s[4:5], s[4:5], 2
	v_lshlrev_b32_e32 v1, 3, v0
	s_waitcnt lgkmcnt(0)
	s_add_u32 s0, s0, s4
	s_addc_u32 s1, s1, s5
	global_load_dwordx2 v[2:3], v1, s[0:1]
	v_mbcnt_lo_u32_b32 v4, -1, 0
	v_mbcnt_hi_u32_b32 v4, -1, v4
	v_and_b32_e32 v6, 15, v4
	v_cmp_ne_u32_e32 vcc, 0, v6
	v_bfe_i32 v8, v4, 4, 1
	v_or_b32_e32 v7, 63, v0
	v_lshrrev_b32_e32 v5, 6, v0
	s_barrier
	s_waitcnt vmcnt(0)
	v_add_u32_e32 v9, v3, v2
	s_nop 1
	v_mov_b32_dpp v10, v9 row_shr:1 row_mask:0xf bank_mask:0xf
	v_cndmask_b32_e32 v10, 0, v10, vcc
	v_add_u32_e32 v9, v10, v9
	v_cmp_lt_u32_e32 vcc, 1, v6
	s_nop 0
	v_mov_b32_dpp v10, v9 row_shr:2 row_mask:0xf bank_mask:0xf
	v_cndmask_b32_e32 v10, 0, v10, vcc
	v_add_u32_e32 v9, v9, v10
	v_cmp_lt_u32_e32 vcc, 3, v6
	;; [unrolled: 5-line block ×4, first 2 shown]
	s_nop 0
	v_mov_b32_dpp v9, v6 row_bcast:15 row_mask:0xf bank_mask:0xf
	v_and_b32_e32 v8, v8, v9
	v_add_u32_e32 v6, v6, v8
	s_nop 1
	v_mov_b32_dpp v8, v6 row_bcast:31 row_mask:0xf bank_mask:0xf
	v_cndmask_b32_e32 v8, 0, v8, vcc
	v_add_u32_e32 v6, v6, v8
	v_cmp_eq_u32_e32 vcc, v7, v0
	s_and_saveexec_b64 s[0:1], vcc
	s_cbranch_execz .LBB29_2
; %bb.1:
	v_lshlrev_b32_e32 v7, 2, v5
	ds_write_b32 v7, v6
.LBB29_2:
	s_or_b64 exec, exec, s[0:1]
	v_cmp_gt_u32_e32 vcc, 4, v0
	s_waitcnt lgkmcnt(0)
	s_barrier
	s_and_saveexec_b64 s[0:1], vcc
	s_cbranch_execz .LBB29_4
; %bb.3:
	v_lshlrev_b32_e32 v7, 2, v0
	ds_read_b32 v8, v7
	v_and_b32_e32 v9, 3, v4
	v_cmp_ne_u32_e32 vcc, 0, v9
	s_waitcnt lgkmcnt(0)
	v_mov_b32_dpp v10, v8 row_shr:1 row_mask:0xf bank_mask:0xf
	v_cndmask_b32_e32 v10, 0, v10, vcc
	v_add_u32_e32 v8, v10, v8
	v_cmp_lt_u32_e32 vcc, 1, v9
	s_nop 0
	v_mov_b32_dpp v10, v8 row_shr:2 row_mask:0xf bank_mask:0xf
	v_cndmask_b32_e32 v9, 0, v10, vcc
	v_add_u32_e32 v8, v8, v9
	ds_write_b32 v7, v8
.LBB29_4:
	s_or_b64 exec, exec, s[0:1]
	v_cmp_lt_u32_e32 vcc, 63, v0
	s_waitcnt lgkmcnt(0)
	s_barrier
	s_waitcnt lgkmcnt(0)
                                        ; implicit-def: $vgpr7
	s_and_saveexec_b64 s[0:1], vcc
	s_cbranch_execz .LBB29_6
; %bb.5:
	v_lshl_add_u32 v5, v5, 2, -4
	ds_read_b32 v7, v5
	s_waitcnt lgkmcnt(0)
	v_add_u32_e32 v6, v7, v6
.LBB29_6:
	s_or_b64 exec, exec, s[0:1]
	v_add_u32_e32 v5, -1, v4
	v_and_b32_e32 v8, 64, v4
	v_cmp_lt_i32_e32 vcc, v5, v8
	v_cndmask_b32_e32 v5, v5, v4, vcc
	v_lshlrev_b32_e32 v5, 2, v5
	ds_bpermute_b32 v5, v5, v6
	v_cmp_eq_u32_e32 vcc, 0, v4
	s_add_u32 s0, s2, s4
	s_addc_u32 s1, s3, s5
	s_waitcnt lgkmcnt(0)
	v_cndmask_b32_e32 v4, v5, v7, vcc
	v_cmp_ne_u32_e32 vcc, 0, v0
	v_cndmask_b32_e32 v0, 0, v4, vcc
	v_add_u32_e32 v2, v0, v2
	v_add_u32_e32 v3, v2, v3
	s_barrier
	global_store_dwordx2 v1, v[2:3], s[0:1]
	s_endpgm
	.section	.rodata,"a",@progbits
	.p2align	6, 0x0
	.amdhsa_kernel _Z16operation_kernelIiLj256ELj2EL23memory_operation_method2E9operationIL16kernel_operation1EiLj2ELj256EEEvPT_S5_T3_
		.amdhsa_group_segment_fixed_size 16
		.amdhsa_private_segment_fixed_size 0
		.amdhsa_kernarg_size 20
		.amdhsa_user_sgpr_count 6
		.amdhsa_user_sgpr_private_segment_buffer 1
		.amdhsa_user_sgpr_dispatch_ptr 0
		.amdhsa_user_sgpr_queue_ptr 0
		.amdhsa_user_sgpr_kernarg_segment_ptr 1
		.amdhsa_user_sgpr_dispatch_id 0
		.amdhsa_user_sgpr_flat_scratch_init 0
		.amdhsa_user_sgpr_kernarg_preload_length 0
		.amdhsa_user_sgpr_kernarg_preload_offset 0
		.amdhsa_user_sgpr_private_segment_size 0
		.amdhsa_uses_dynamic_stack 0
		.amdhsa_system_sgpr_private_segment_wavefront_offset 0
		.amdhsa_system_sgpr_workgroup_id_x 1
		.amdhsa_system_sgpr_workgroup_id_y 0
		.amdhsa_system_sgpr_workgroup_id_z 0
		.amdhsa_system_sgpr_workgroup_info 0
		.amdhsa_system_vgpr_workitem_id 0
		.amdhsa_next_free_vgpr 11
		.amdhsa_next_free_sgpr 7
		.amdhsa_accum_offset 12
		.amdhsa_reserve_vcc 1
		.amdhsa_reserve_flat_scratch 0
		.amdhsa_float_round_mode_32 0
		.amdhsa_float_round_mode_16_64 0
		.amdhsa_float_denorm_mode_32 3
		.amdhsa_float_denorm_mode_16_64 3
		.amdhsa_dx10_clamp 1
		.amdhsa_ieee_mode 1
		.amdhsa_fp16_overflow 0
		.amdhsa_tg_split 0
		.amdhsa_exception_fp_ieee_invalid_op 0
		.amdhsa_exception_fp_denorm_src 0
		.amdhsa_exception_fp_ieee_div_zero 0
		.amdhsa_exception_fp_ieee_overflow 0
		.amdhsa_exception_fp_ieee_underflow 0
		.amdhsa_exception_fp_ieee_inexact 0
		.amdhsa_exception_int_div_zero 0
	.end_amdhsa_kernel
	.section	.text._Z16operation_kernelIiLj256ELj2EL23memory_operation_method2E9operationIL16kernel_operation1EiLj2ELj256EEEvPT_S5_T3_,"axG",@progbits,_Z16operation_kernelIiLj256ELj2EL23memory_operation_method2E9operationIL16kernel_operation1EiLj2ELj256EEEvPT_S5_T3_,comdat
.Lfunc_end29:
	.size	_Z16operation_kernelIiLj256ELj2EL23memory_operation_method2E9operationIL16kernel_operation1EiLj2ELj256EEEvPT_S5_T3_, .Lfunc_end29-_Z16operation_kernelIiLj256ELj2EL23memory_operation_method2E9operationIL16kernel_operation1EiLj2ELj256EEEvPT_S5_T3_
                                        ; -- End function
	.section	.AMDGPU.csdata,"",@progbits
; Kernel info:
; codeLenInByte = 488
; NumSgprs: 11
; NumVgprs: 11
; NumAgprs: 0
; TotalNumVgprs: 11
; ScratchSize: 0
; MemoryBound: 0
; FloatMode: 240
; IeeeMode: 1
; LDSByteSize: 16 bytes/workgroup (compile time only)
; SGPRBlocks: 1
; VGPRBlocks: 1
; NumSGPRsForWavesPerEU: 11
; NumVGPRsForWavesPerEU: 11
; AccumOffset: 12
; Occupancy: 8
; WaveLimiterHint : 0
; COMPUTE_PGM_RSRC2:SCRATCH_EN: 0
; COMPUTE_PGM_RSRC2:USER_SGPR: 6
; COMPUTE_PGM_RSRC2:TRAP_HANDLER: 0
; COMPUTE_PGM_RSRC2:TGID_X_EN: 1
; COMPUTE_PGM_RSRC2:TGID_Y_EN: 0
; COMPUTE_PGM_RSRC2:TGID_Z_EN: 0
; COMPUTE_PGM_RSRC2:TIDIG_COMP_CNT: 0
; COMPUTE_PGM_RSRC3_GFX90A:ACCUM_OFFSET: 2
; COMPUTE_PGM_RSRC3_GFX90A:TG_SPLIT: 0
	.section	.text._Z16operation_kernelIiLj256ELj4EL23memory_operation_method2E9operationIL16kernel_operation1EiLj4ELj256EEEvPT_S5_T3_,"axG",@progbits,_Z16operation_kernelIiLj256ELj4EL23memory_operation_method2E9operationIL16kernel_operation1EiLj4ELj256EEEvPT_S5_T3_,comdat
	.protected	_Z16operation_kernelIiLj256ELj4EL23memory_operation_method2E9operationIL16kernel_operation1EiLj4ELj256EEEvPT_S5_T3_ ; -- Begin function _Z16operation_kernelIiLj256ELj4EL23memory_operation_method2E9operationIL16kernel_operation1EiLj4ELj256EEEvPT_S5_T3_
	.globl	_Z16operation_kernelIiLj256ELj4EL23memory_operation_method2E9operationIL16kernel_operation1EiLj4ELj256EEEvPT_S5_T3_
	.p2align	8
	.type	_Z16operation_kernelIiLj256ELj4EL23memory_operation_method2E9operationIL16kernel_operation1EiLj4ELj256EEEvPT_S5_T3_,@function
_Z16operation_kernelIiLj256ELj4EL23memory_operation_method2E9operationIL16kernel_operation1EiLj4ELj256EEEvPT_S5_T3_: ; @_Z16operation_kernelIiLj256ELj4EL23memory_operation_method2E9operationIL16kernel_operation1EiLj4ELj256EEEvPT_S5_T3_
; %bb.0:
	s_load_dwordx4 s[0:3], s[4:5], 0x0
	s_lshl_b32 s4, s6, 10
	s_mov_b32 s5, 0
	s_lshl_b64 s[4:5], s[4:5], 2
	v_lshlrev_b32_e32 v1, 4, v0
	s_waitcnt lgkmcnt(0)
	s_add_u32 s0, s0, s4
	s_addc_u32 s1, s1, s5
	global_load_dwordx4 v[2:5], v1, s[0:1]
	v_mbcnt_lo_u32_b32 v6, -1, 0
	v_mbcnt_hi_u32_b32 v6, -1, v6
	v_and_b32_e32 v8, 15, v6
	v_cmp_ne_u32_e32 vcc, 0, v8
	v_bfe_i32 v10, v6, 4, 1
	v_or_b32_e32 v9, 63, v0
	v_lshrrev_b32_e32 v7, 6, v0
	s_barrier
	s_waitcnt vmcnt(0)
	v_add_u32_e32 v11, v3, v2
	v_add3_u32 v11, v11, v4, v5
	s_nop 1
	v_mov_b32_dpp v12, v11 row_shr:1 row_mask:0xf bank_mask:0xf
	v_cndmask_b32_e32 v12, 0, v12, vcc
	v_add_u32_e32 v11, v12, v11
	v_cmp_lt_u32_e32 vcc, 1, v8
	s_nop 0
	v_mov_b32_dpp v12, v11 row_shr:2 row_mask:0xf bank_mask:0xf
	v_cndmask_b32_e32 v12, 0, v12, vcc
	v_add_u32_e32 v11, v11, v12
	v_cmp_lt_u32_e32 vcc, 3, v8
	;; [unrolled: 5-line block ×4, first 2 shown]
	s_nop 0
	v_mov_b32_dpp v11, v8 row_bcast:15 row_mask:0xf bank_mask:0xf
	v_and_b32_e32 v10, v10, v11
	v_add_u32_e32 v8, v8, v10
	s_nop 1
	v_mov_b32_dpp v10, v8 row_bcast:31 row_mask:0xf bank_mask:0xf
	v_cndmask_b32_e32 v10, 0, v10, vcc
	v_add_u32_e32 v8, v8, v10
	v_cmp_eq_u32_e32 vcc, v9, v0
	s_and_saveexec_b64 s[0:1], vcc
	s_cbranch_execz .LBB30_2
; %bb.1:
	v_lshlrev_b32_e32 v9, 2, v7
	ds_write_b32 v9, v8
.LBB30_2:
	s_or_b64 exec, exec, s[0:1]
	v_cmp_gt_u32_e32 vcc, 4, v0
	s_waitcnt lgkmcnt(0)
	s_barrier
	s_and_saveexec_b64 s[0:1], vcc
	s_cbranch_execz .LBB30_4
; %bb.3:
	v_lshlrev_b32_e32 v9, 2, v0
	ds_read_b32 v10, v9
	v_and_b32_e32 v11, 3, v6
	v_cmp_ne_u32_e32 vcc, 0, v11
	s_waitcnt lgkmcnt(0)
	v_mov_b32_dpp v12, v10 row_shr:1 row_mask:0xf bank_mask:0xf
	v_cndmask_b32_e32 v12, 0, v12, vcc
	v_add_u32_e32 v10, v12, v10
	v_cmp_lt_u32_e32 vcc, 1, v11
	s_nop 0
	v_mov_b32_dpp v12, v10 row_shr:2 row_mask:0xf bank_mask:0xf
	v_cndmask_b32_e32 v11, 0, v12, vcc
	v_add_u32_e32 v10, v10, v11
	ds_write_b32 v9, v10
.LBB30_4:
	s_or_b64 exec, exec, s[0:1]
	v_cmp_lt_u32_e32 vcc, 63, v0
	s_waitcnt lgkmcnt(0)
	s_barrier
	s_waitcnt lgkmcnt(0)
                                        ; implicit-def: $vgpr9
	s_and_saveexec_b64 s[0:1], vcc
	s_cbranch_execz .LBB30_6
; %bb.5:
	v_lshl_add_u32 v7, v7, 2, -4
	ds_read_b32 v9, v7
	s_waitcnt lgkmcnt(0)
	v_add_u32_e32 v8, v9, v8
.LBB30_6:
	s_or_b64 exec, exec, s[0:1]
	v_add_u32_e32 v7, -1, v6
	v_and_b32_e32 v10, 64, v6
	v_cmp_lt_i32_e32 vcc, v7, v10
	v_cndmask_b32_e32 v7, v7, v6, vcc
	v_lshlrev_b32_e32 v7, 2, v7
	ds_bpermute_b32 v7, v7, v8
	v_cmp_eq_u32_e32 vcc, 0, v6
	s_add_u32 s0, s2, s4
	s_addc_u32 s1, s3, s5
	s_waitcnt lgkmcnt(0)
	v_cndmask_b32_e32 v6, v7, v9, vcc
	v_cmp_ne_u32_e32 vcc, 0, v0
	v_cndmask_b32_e32 v0, 0, v6, vcc
	v_add_u32_e32 v2, v0, v2
	v_add_u32_e32 v3, v2, v3
	;; [unrolled: 1-line block ×4, first 2 shown]
	s_barrier
	global_store_dwordx4 v1, v[2:5], s[0:1]
	s_endpgm
	.section	.rodata,"a",@progbits
	.p2align	6, 0x0
	.amdhsa_kernel _Z16operation_kernelIiLj256ELj4EL23memory_operation_method2E9operationIL16kernel_operation1EiLj4ELj256EEEvPT_S5_T3_
		.amdhsa_group_segment_fixed_size 16
		.amdhsa_private_segment_fixed_size 0
		.amdhsa_kernarg_size 20
		.amdhsa_user_sgpr_count 6
		.amdhsa_user_sgpr_private_segment_buffer 1
		.amdhsa_user_sgpr_dispatch_ptr 0
		.amdhsa_user_sgpr_queue_ptr 0
		.amdhsa_user_sgpr_kernarg_segment_ptr 1
		.amdhsa_user_sgpr_dispatch_id 0
		.amdhsa_user_sgpr_flat_scratch_init 0
		.amdhsa_user_sgpr_kernarg_preload_length 0
		.amdhsa_user_sgpr_kernarg_preload_offset 0
		.amdhsa_user_sgpr_private_segment_size 0
		.amdhsa_uses_dynamic_stack 0
		.amdhsa_system_sgpr_private_segment_wavefront_offset 0
		.amdhsa_system_sgpr_workgroup_id_x 1
		.amdhsa_system_sgpr_workgroup_id_y 0
		.amdhsa_system_sgpr_workgroup_id_z 0
		.amdhsa_system_sgpr_workgroup_info 0
		.amdhsa_system_vgpr_workitem_id 0
		.amdhsa_next_free_vgpr 13
		.amdhsa_next_free_sgpr 7
		.amdhsa_accum_offset 16
		.amdhsa_reserve_vcc 1
		.amdhsa_reserve_flat_scratch 0
		.amdhsa_float_round_mode_32 0
		.amdhsa_float_round_mode_16_64 0
		.amdhsa_float_denorm_mode_32 3
		.amdhsa_float_denorm_mode_16_64 3
		.amdhsa_dx10_clamp 1
		.amdhsa_ieee_mode 1
		.amdhsa_fp16_overflow 0
		.amdhsa_tg_split 0
		.amdhsa_exception_fp_ieee_invalid_op 0
		.amdhsa_exception_fp_denorm_src 0
		.amdhsa_exception_fp_ieee_div_zero 0
		.amdhsa_exception_fp_ieee_overflow 0
		.amdhsa_exception_fp_ieee_underflow 0
		.amdhsa_exception_fp_ieee_inexact 0
		.amdhsa_exception_int_div_zero 0
	.end_amdhsa_kernel
	.section	.text._Z16operation_kernelIiLj256ELj4EL23memory_operation_method2E9operationIL16kernel_operation1EiLj4ELj256EEEvPT_S5_T3_,"axG",@progbits,_Z16operation_kernelIiLj256ELj4EL23memory_operation_method2E9operationIL16kernel_operation1EiLj4ELj256EEEvPT_S5_T3_,comdat
.Lfunc_end30:
	.size	_Z16operation_kernelIiLj256ELj4EL23memory_operation_method2E9operationIL16kernel_operation1EiLj4ELj256EEEvPT_S5_T3_, .Lfunc_end30-_Z16operation_kernelIiLj256ELj4EL23memory_operation_method2E9operationIL16kernel_operation1EiLj4ELj256EEEvPT_S5_T3_
                                        ; -- End function
	.section	.AMDGPU.csdata,"",@progbits
; Kernel info:
; codeLenInByte = 504
; NumSgprs: 11
; NumVgprs: 13
; NumAgprs: 0
; TotalNumVgprs: 13
; ScratchSize: 0
; MemoryBound: 0
; FloatMode: 240
; IeeeMode: 1
; LDSByteSize: 16 bytes/workgroup (compile time only)
; SGPRBlocks: 1
; VGPRBlocks: 1
; NumSGPRsForWavesPerEU: 11
; NumVGPRsForWavesPerEU: 13
; AccumOffset: 16
; Occupancy: 8
; WaveLimiterHint : 0
; COMPUTE_PGM_RSRC2:SCRATCH_EN: 0
; COMPUTE_PGM_RSRC2:USER_SGPR: 6
; COMPUTE_PGM_RSRC2:TRAP_HANDLER: 0
; COMPUTE_PGM_RSRC2:TGID_X_EN: 1
; COMPUTE_PGM_RSRC2:TGID_Y_EN: 0
; COMPUTE_PGM_RSRC2:TGID_Z_EN: 0
; COMPUTE_PGM_RSRC2:TIDIG_COMP_CNT: 0
; COMPUTE_PGM_RSRC3_GFX90A:ACCUM_OFFSET: 3
; COMPUTE_PGM_RSRC3_GFX90A:TG_SPLIT: 0
	.section	.text._Z16operation_kernelIiLj256ELj8EL23memory_operation_method2E9operationIL16kernel_operation1EiLj8ELj256EEEvPT_S5_T3_,"axG",@progbits,_Z16operation_kernelIiLj256ELj8EL23memory_operation_method2E9operationIL16kernel_operation1EiLj8ELj256EEEvPT_S5_T3_,comdat
	.protected	_Z16operation_kernelIiLj256ELj8EL23memory_operation_method2E9operationIL16kernel_operation1EiLj8ELj256EEEvPT_S5_T3_ ; -- Begin function _Z16operation_kernelIiLj256ELj8EL23memory_operation_method2E9operationIL16kernel_operation1EiLj8ELj256EEEvPT_S5_T3_
	.globl	_Z16operation_kernelIiLj256ELj8EL23memory_operation_method2E9operationIL16kernel_operation1EiLj8ELj256EEEvPT_S5_T3_
	.p2align	8
	.type	_Z16operation_kernelIiLj256ELj8EL23memory_operation_method2E9operationIL16kernel_operation1EiLj8ELj256EEEvPT_S5_T3_,@function
_Z16operation_kernelIiLj256ELj8EL23memory_operation_method2E9operationIL16kernel_operation1EiLj8ELj256EEEvPT_S5_T3_: ; @_Z16operation_kernelIiLj256ELj8EL23memory_operation_method2E9operationIL16kernel_operation1EiLj8ELj256EEEvPT_S5_T3_
; %bb.0:
	s_load_dwordx4 s[0:3], s[4:5], 0x0
	s_lshl_b32 s4, s6, 11
	s_mov_b32 s5, 0
	s_lshl_b64 s[4:5], s[4:5], 2
	v_lshlrev_b32_e32 v1, 5, v0
	s_waitcnt lgkmcnt(0)
	s_add_u32 s0, s0, s4
	s_addc_u32 s1, s1, s5
	global_load_dwordx4 v[6:9], v1, s[0:1]
	global_load_dwordx4 v[2:5], v1, s[0:1] offset:16
	v_mbcnt_lo_u32_b32 v1, -1, 0
	v_mbcnt_hi_u32_b32 v1, -1, v1
	v_and_b32_e32 v12, 15, v1
	v_cmp_ne_u32_e32 vcc, 0, v12
	v_bfe_i32 v13, v1, 4, 1
	v_or_b32_e32 v11, 63, v0
	v_lshrrev_b32_e32 v10, 6, v0
	s_barrier
	s_waitcnt vmcnt(1)
	v_add_u32_e32 v14, v7, v6
	v_add3_u32 v14, v14, v8, v9
	s_waitcnt vmcnt(0)
	v_add3_u32 v14, v14, v2, v3
	v_add3_u32 v14, v14, v4, v5
	s_nop 1
	v_mov_b32_dpp v15, v14 row_shr:1 row_mask:0xf bank_mask:0xf
	v_cndmask_b32_e32 v15, 0, v15, vcc
	v_add_u32_e32 v14, v15, v14
	v_cmp_lt_u32_e32 vcc, 1, v12
	s_nop 0
	v_mov_b32_dpp v15, v14 row_shr:2 row_mask:0xf bank_mask:0xf
	v_cndmask_b32_e32 v15, 0, v15, vcc
	v_add_u32_e32 v14, v14, v15
	v_cmp_lt_u32_e32 vcc, 3, v12
	;; [unrolled: 5-line block ×4, first 2 shown]
	s_nop 0
	v_mov_b32_dpp v14, v12 row_bcast:15 row_mask:0xf bank_mask:0xf
	v_and_b32_e32 v13, v13, v14
	v_add_u32_e32 v12, v12, v13
	s_nop 1
	v_mov_b32_dpp v13, v12 row_bcast:31 row_mask:0xf bank_mask:0xf
	v_cndmask_b32_e32 v13, 0, v13, vcc
	v_add_u32_e32 v12, v12, v13
	v_cmp_eq_u32_e32 vcc, v11, v0
	s_and_saveexec_b64 s[0:1], vcc
	s_cbranch_execz .LBB31_2
; %bb.1:
	v_lshlrev_b32_e32 v11, 2, v10
	ds_write_b32 v11, v12
.LBB31_2:
	s_or_b64 exec, exec, s[0:1]
	v_lshlrev_b32_e32 v11, 1, v0
	v_cmp_gt_u32_e32 vcc, 4, v0
	s_waitcnt lgkmcnt(0)
	s_barrier
	s_and_saveexec_b64 s[0:1], vcc
	s_cbranch_execz .LBB31_4
; %bb.3:
	v_lshlrev_b32_e32 v13, 2, v0
	ds_read_b32 v14, v13
	v_and_b32_e32 v15, 3, v1
	v_cmp_ne_u32_e32 vcc, 0, v15
	s_waitcnt lgkmcnt(0)
	v_mov_b32_dpp v16, v14 row_shr:1 row_mask:0xf bank_mask:0xf
	v_cndmask_b32_e32 v16, 0, v16, vcc
	v_add_u32_e32 v14, v16, v14
	v_cmp_lt_u32_e32 vcc, 1, v15
	s_nop 0
	v_mov_b32_dpp v16, v14 row_shr:2 row_mask:0xf bank_mask:0xf
	v_cndmask_b32_e32 v15, 0, v16, vcc
	v_add_u32_e32 v14, v14, v15
	ds_write_b32 v13, v14
.LBB31_4:
	s_or_b64 exec, exec, s[0:1]
	v_cmp_lt_u32_e32 vcc, 63, v0
	s_waitcnt lgkmcnt(0)
	s_barrier
	s_waitcnt lgkmcnt(0)
                                        ; implicit-def: $vgpr13
	s_and_saveexec_b64 s[0:1], vcc
	s_cbranch_execz .LBB31_6
; %bb.5:
	v_lshl_add_u32 v10, v10, 2, -4
	ds_read_b32 v13, v10
	s_waitcnt lgkmcnt(0)
	v_add_u32_e32 v12, v13, v12
.LBB31_6:
	s_or_b64 exec, exec, s[0:1]
	v_add_u32_e32 v10, -1, v1
	v_and_b32_e32 v14, 64, v1
	v_cmp_lt_i32_e32 vcc, v10, v14
	v_cndmask_b32_e32 v10, v10, v1, vcc
	v_lshlrev_b32_e32 v10, 2, v10
	ds_bpermute_b32 v10, v10, v12
	v_cmp_eq_u32_e32 vcc, 0, v1
	s_add_u32 s0, s2, s4
	s_addc_u32 s1, s3, s5
	s_waitcnt lgkmcnt(0)
	v_cndmask_b32_e32 v1, v10, v13, vcc
	v_cmp_ne_u32_e32 vcc, 0, v0
	v_cndmask_b32_e32 v0, 0, v1, vcc
	v_add_u32_e32 v6, v0, v6
	v_add_u32_e32 v7, v6, v7
	;; [unrolled: 1-line block ×7, first 2 shown]
	v_lshlrev_b32_e32 v4, 4, v11
	v_add_u32_e32 v3, v2, v5
	s_barrier
	global_store_dwordx4 v4, v[6:9], s[0:1]
	global_store_dwordx4 v4, v[0:3], s[0:1] offset:16
	s_endpgm
	.section	.rodata,"a",@progbits
	.p2align	6, 0x0
	.amdhsa_kernel _Z16operation_kernelIiLj256ELj8EL23memory_operation_method2E9operationIL16kernel_operation1EiLj8ELj256EEEvPT_S5_T3_
		.amdhsa_group_segment_fixed_size 16
		.amdhsa_private_segment_fixed_size 0
		.amdhsa_kernarg_size 20
		.amdhsa_user_sgpr_count 6
		.amdhsa_user_sgpr_private_segment_buffer 1
		.amdhsa_user_sgpr_dispatch_ptr 0
		.amdhsa_user_sgpr_queue_ptr 0
		.amdhsa_user_sgpr_kernarg_segment_ptr 1
		.amdhsa_user_sgpr_dispatch_id 0
		.amdhsa_user_sgpr_flat_scratch_init 0
		.amdhsa_user_sgpr_kernarg_preload_length 0
		.amdhsa_user_sgpr_kernarg_preload_offset 0
		.amdhsa_user_sgpr_private_segment_size 0
		.amdhsa_uses_dynamic_stack 0
		.amdhsa_system_sgpr_private_segment_wavefront_offset 0
		.amdhsa_system_sgpr_workgroup_id_x 1
		.amdhsa_system_sgpr_workgroup_id_y 0
		.amdhsa_system_sgpr_workgroup_id_z 0
		.amdhsa_system_sgpr_workgroup_info 0
		.amdhsa_system_vgpr_workitem_id 0
		.amdhsa_next_free_vgpr 17
		.amdhsa_next_free_sgpr 7
		.amdhsa_accum_offset 20
		.amdhsa_reserve_vcc 1
		.amdhsa_reserve_flat_scratch 0
		.amdhsa_float_round_mode_32 0
		.amdhsa_float_round_mode_16_64 0
		.amdhsa_float_denorm_mode_32 3
		.amdhsa_float_denorm_mode_16_64 3
		.amdhsa_dx10_clamp 1
		.amdhsa_ieee_mode 1
		.amdhsa_fp16_overflow 0
		.amdhsa_tg_split 0
		.amdhsa_exception_fp_ieee_invalid_op 0
		.amdhsa_exception_fp_denorm_src 0
		.amdhsa_exception_fp_ieee_div_zero 0
		.amdhsa_exception_fp_ieee_overflow 0
		.amdhsa_exception_fp_ieee_underflow 0
		.amdhsa_exception_fp_ieee_inexact 0
		.amdhsa_exception_int_div_zero 0
	.end_amdhsa_kernel
	.section	.text._Z16operation_kernelIiLj256ELj8EL23memory_operation_method2E9operationIL16kernel_operation1EiLj8ELj256EEEvPT_S5_T3_,"axG",@progbits,_Z16operation_kernelIiLj256ELj8EL23memory_operation_method2E9operationIL16kernel_operation1EiLj8ELj256EEEvPT_S5_T3_,comdat
.Lfunc_end31:
	.size	_Z16operation_kernelIiLj256ELj8EL23memory_operation_method2E9operationIL16kernel_operation1EiLj8ELj256EEEvPT_S5_T3_, .Lfunc_end31-_Z16operation_kernelIiLj256ELj8EL23memory_operation_method2E9operationIL16kernel_operation1EiLj8ELj256EEEvPT_S5_T3_
                                        ; -- End function
	.section	.AMDGPU.csdata,"",@progbits
; Kernel info:
; codeLenInByte = 564
; NumSgprs: 11
; NumVgprs: 17
; NumAgprs: 0
; TotalNumVgprs: 17
; ScratchSize: 0
; MemoryBound: 0
; FloatMode: 240
; IeeeMode: 1
; LDSByteSize: 16 bytes/workgroup (compile time only)
; SGPRBlocks: 1
; VGPRBlocks: 2
; NumSGPRsForWavesPerEU: 11
; NumVGPRsForWavesPerEU: 17
; AccumOffset: 20
; Occupancy: 8
; WaveLimiterHint : 0
; COMPUTE_PGM_RSRC2:SCRATCH_EN: 0
; COMPUTE_PGM_RSRC2:USER_SGPR: 6
; COMPUTE_PGM_RSRC2:TRAP_HANDLER: 0
; COMPUTE_PGM_RSRC2:TGID_X_EN: 1
; COMPUTE_PGM_RSRC2:TGID_Y_EN: 0
; COMPUTE_PGM_RSRC2:TGID_Z_EN: 0
; COMPUTE_PGM_RSRC2:TIDIG_COMP_CNT: 0
; COMPUTE_PGM_RSRC3_GFX90A:ACCUM_OFFSET: 4
; COMPUTE_PGM_RSRC3_GFX90A:TG_SPLIT: 0
	.section	.text._Z16operation_kernelIiLj256ELj1EL23memory_operation_method3E9operationIL16kernel_operation1EiLj1ELj256EEEvPT_S5_T3_,"axG",@progbits,_Z16operation_kernelIiLj256ELj1EL23memory_operation_method3E9operationIL16kernel_operation1EiLj1ELj256EEEvPT_S5_T3_,comdat
	.protected	_Z16operation_kernelIiLj256ELj1EL23memory_operation_method3E9operationIL16kernel_operation1EiLj1ELj256EEEvPT_S5_T3_ ; -- Begin function _Z16operation_kernelIiLj256ELj1EL23memory_operation_method3E9operationIL16kernel_operation1EiLj1ELj256EEEvPT_S5_T3_
	.globl	_Z16operation_kernelIiLj256ELj1EL23memory_operation_method3E9operationIL16kernel_operation1EiLj1ELj256EEEvPT_S5_T3_
	.p2align	8
	.type	_Z16operation_kernelIiLj256ELj1EL23memory_operation_method3E9operationIL16kernel_operation1EiLj1ELj256EEEvPT_S5_T3_,@function
_Z16operation_kernelIiLj256ELj1EL23memory_operation_method3E9operationIL16kernel_operation1EiLj1ELj256EEEvPT_S5_T3_: ; @_Z16operation_kernelIiLj256ELj1EL23memory_operation_method3E9operationIL16kernel_operation1EiLj1ELj256EEEvPT_S5_T3_
; %bb.0:
	s_load_dwordx4 s[0:3], s[4:5], 0x0
	s_lshl_b32 s4, s6, 8
	s_mov_b32 s5, 0
	s_lshl_b64 s[4:5], s[4:5], 2
	v_lshlrev_b32_e32 v1, 2, v0
	s_waitcnt lgkmcnt(0)
	s_add_u32 s0, s0, s4
	s_addc_u32 s1, s1, s5
	global_load_dword v4, v1, s[0:1]
	v_mbcnt_lo_u32_b32 v2, -1, 0
	v_mbcnt_hi_u32_b32 v2, -1, v2
	v_and_b32_e32 v6, 15, v2
	v_cmp_ne_u32_e32 vcc, 0, v6
	v_bfe_i32 v7, v2, 4, 1
	v_or_b32_e32 v5, 63, v0
	v_lshrrev_b32_e32 v3, 6, v0
	s_waitcnt vmcnt(0)
	ds_write_b32 v1, v4
	s_waitcnt lgkmcnt(0)
	s_barrier
	ds_read_b32 v4, v1
	s_waitcnt lgkmcnt(0)
	s_barrier
	v_mov_b32_dpp v8, v4 row_shr:1 row_mask:0xf bank_mask:0xf
	v_cndmask_b32_e32 v8, 0, v8, vcc
	v_add_u32_e32 v4, v8, v4
	v_cmp_lt_u32_e32 vcc, 1, v6
	s_nop 0
	v_mov_b32_dpp v8, v4 row_shr:2 row_mask:0xf bank_mask:0xf
	v_cndmask_b32_e32 v8, 0, v8, vcc
	v_add_u32_e32 v4, v4, v8
	v_cmp_lt_u32_e32 vcc, 3, v6
	s_nop 0
	;; [unrolled: 5-line block ×4, first 2 shown]
	v_mov_b32_dpp v6, v4 row_bcast:15 row_mask:0xf bank_mask:0xf
	v_and_b32_e32 v6, v7, v6
	v_add_u32_e32 v4, v4, v6
	s_nop 1
	v_mov_b32_dpp v6, v4 row_bcast:31 row_mask:0xf bank_mask:0xf
	v_cndmask_b32_e32 v6, 0, v6, vcc
	v_add_u32_e32 v4, v4, v6
	v_cmp_eq_u32_e32 vcc, v5, v0
	s_and_saveexec_b64 s[0:1], vcc
	s_cbranch_execz .LBB32_2
; %bb.1:
	v_lshlrev_b32_e32 v5, 2, v3
	ds_write_b32 v5, v4
.LBB32_2:
	s_or_b64 exec, exec, s[0:1]
	v_cmp_gt_u32_e32 vcc, 4, v0
	s_waitcnt lgkmcnt(0)
	s_barrier
	s_and_saveexec_b64 s[0:1], vcc
	s_cbranch_execz .LBB32_4
; %bb.3:
	ds_read_b32 v5, v1
	v_and_b32_e32 v2, 3, v2
	v_cmp_ne_u32_e32 vcc, 0, v2
	s_waitcnt lgkmcnt(0)
	v_mov_b32_dpp v6, v5 row_shr:1 row_mask:0xf bank_mask:0xf
	v_cndmask_b32_e32 v6, 0, v6, vcc
	v_add_u32_e32 v5, v6, v5
	v_cmp_lt_u32_e32 vcc, 1, v2
	s_nop 0
	v_mov_b32_dpp v6, v5 row_shr:2 row_mask:0xf bank_mask:0xf
	v_cndmask_b32_e32 v2, 0, v6, vcc
	v_add_u32_e32 v2, v5, v2
	ds_write_b32 v1, v2
.LBB32_4:
	s_or_b64 exec, exec, s[0:1]
	v_cmp_lt_u32_e32 vcc, 63, v0
	s_waitcnt lgkmcnt(0)
	s_barrier
	s_and_saveexec_b64 s[0:1], vcc
	s_cbranch_execz .LBB32_6
; %bb.5:
	v_lshl_add_u32 v0, v3, 2, -4
	ds_read_b32 v0, v0
	s_waitcnt lgkmcnt(0)
	v_add_u32_e32 v4, v0, v4
.LBB32_6:
	s_or_b64 exec, exec, s[0:1]
	s_barrier
	ds_write_b32 v1, v4
	s_waitcnt lgkmcnt(0)
	s_barrier
	ds_read_b32 v0, v1
	s_add_u32 s0, s2, s4
	s_addc_u32 s1, s3, s5
	s_waitcnt lgkmcnt(0)
	global_store_dword v1, v0, s[0:1]
	s_endpgm
	.section	.rodata,"a",@progbits
	.p2align	6, 0x0
	.amdhsa_kernel _Z16operation_kernelIiLj256ELj1EL23memory_operation_method3E9operationIL16kernel_operation1EiLj1ELj256EEEvPT_S5_T3_
		.amdhsa_group_segment_fixed_size 1024
		.amdhsa_private_segment_fixed_size 0
		.amdhsa_kernarg_size 20
		.amdhsa_user_sgpr_count 6
		.amdhsa_user_sgpr_private_segment_buffer 1
		.amdhsa_user_sgpr_dispatch_ptr 0
		.amdhsa_user_sgpr_queue_ptr 0
		.amdhsa_user_sgpr_kernarg_segment_ptr 1
		.amdhsa_user_sgpr_dispatch_id 0
		.amdhsa_user_sgpr_flat_scratch_init 0
		.amdhsa_user_sgpr_kernarg_preload_length 0
		.amdhsa_user_sgpr_kernarg_preload_offset 0
		.amdhsa_user_sgpr_private_segment_size 0
		.amdhsa_uses_dynamic_stack 0
		.amdhsa_system_sgpr_private_segment_wavefront_offset 0
		.amdhsa_system_sgpr_workgroup_id_x 1
		.amdhsa_system_sgpr_workgroup_id_y 0
		.amdhsa_system_sgpr_workgroup_id_z 0
		.amdhsa_system_sgpr_workgroup_info 0
		.amdhsa_system_vgpr_workitem_id 0
		.amdhsa_next_free_vgpr 9
		.amdhsa_next_free_sgpr 7
		.amdhsa_accum_offset 12
		.amdhsa_reserve_vcc 1
		.amdhsa_reserve_flat_scratch 0
		.amdhsa_float_round_mode_32 0
		.amdhsa_float_round_mode_16_64 0
		.amdhsa_float_denorm_mode_32 3
		.amdhsa_float_denorm_mode_16_64 3
		.amdhsa_dx10_clamp 1
		.amdhsa_ieee_mode 1
		.amdhsa_fp16_overflow 0
		.amdhsa_tg_split 0
		.amdhsa_exception_fp_ieee_invalid_op 0
		.amdhsa_exception_fp_denorm_src 0
		.amdhsa_exception_fp_ieee_div_zero 0
		.amdhsa_exception_fp_ieee_overflow 0
		.amdhsa_exception_fp_ieee_underflow 0
		.amdhsa_exception_fp_ieee_inexact 0
		.amdhsa_exception_int_div_zero 0
	.end_amdhsa_kernel
	.section	.text._Z16operation_kernelIiLj256ELj1EL23memory_operation_method3E9operationIL16kernel_operation1EiLj1ELj256EEEvPT_S5_T3_,"axG",@progbits,_Z16operation_kernelIiLj256ELj1EL23memory_operation_method3E9operationIL16kernel_operation1EiLj1ELj256EEEvPT_S5_T3_,comdat
.Lfunc_end32:
	.size	_Z16operation_kernelIiLj256ELj1EL23memory_operation_method3E9operationIL16kernel_operation1EiLj1ELj256EEEvPT_S5_T3_, .Lfunc_end32-_Z16operation_kernelIiLj256ELj1EL23memory_operation_method3E9operationIL16kernel_operation1EiLj1ELj256EEEvPT_S5_T3_
                                        ; -- End function
	.section	.AMDGPU.csdata,"",@progbits
; Kernel info:
; codeLenInByte = 472
; NumSgprs: 11
; NumVgprs: 9
; NumAgprs: 0
; TotalNumVgprs: 9
; ScratchSize: 0
; MemoryBound: 0
; FloatMode: 240
; IeeeMode: 1
; LDSByteSize: 1024 bytes/workgroup (compile time only)
; SGPRBlocks: 1
; VGPRBlocks: 1
; NumSGPRsForWavesPerEU: 11
; NumVGPRsForWavesPerEU: 9
; AccumOffset: 12
; Occupancy: 8
; WaveLimiterHint : 0
; COMPUTE_PGM_RSRC2:SCRATCH_EN: 0
; COMPUTE_PGM_RSRC2:USER_SGPR: 6
; COMPUTE_PGM_RSRC2:TRAP_HANDLER: 0
; COMPUTE_PGM_RSRC2:TGID_X_EN: 1
; COMPUTE_PGM_RSRC2:TGID_Y_EN: 0
; COMPUTE_PGM_RSRC2:TGID_Z_EN: 0
; COMPUTE_PGM_RSRC2:TIDIG_COMP_CNT: 0
; COMPUTE_PGM_RSRC3_GFX90A:ACCUM_OFFSET: 2
; COMPUTE_PGM_RSRC3_GFX90A:TG_SPLIT: 0
	.section	.text._Z16operation_kernelIiLj256ELj2EL23memory_operation_method3E9operationIL16kernel_operation1EiLj2ELj256EEEvPT_S5_T3_,"axG",@progbits,_Z16operation_kernelIiLj256ELj2EL23memory_operation_method3E9operationIL16kernel_operation1EiLj2ELj256EEEvPT_S5_T3_,comdat
	.protected	_Z16operation_kernelIiLj256ELj2EL23memory_operation_method3E9operationIL16kernel_operation1EiLj2ELj256EEEvPT_S5_T3_ ; -- Begin function _Z16operation_kernelIiLj256ELj2EL23memory_operation_method3E9operationIL16kernel_operation1EiLj2ELj256EEEvPT_S5_T3_
	.globl	_Z16operation_kernelIiLj256ELj2EL23memory_operation_method3E9operationIL16kernel_operation1EiLj2ELj256EEEvPT_S5_T3_
	.p2align	8
	.type	_Z16operation_kernelIiLj256ELj2EL23memory_operation_method3E9operationIL16kernel_operation1EiLj2ELj256EEEvPT_S5_T3_,@function
_Z16operation_kernelIiLj256ELj2EL23memory_operation_method3E9operationIL16kernel_operation1EiLj2ELj256EEEvPT_S5_T3_: ; @_Z16operation_kernelIiLj256ELj2EL23memory_operation_method3E9operationIL16kernel_operation1EiLj2ELj256EEEvPT_S5_T3_
; %bb.0:
	s_load_dwordx4 s[0:3], s[4:5], 0x0
	s_lshl_b32 s4, s6, 9
	s_mov_b32 s5, 0
	s_lshl_b64 s[4:5], s[4:5], 2
	v_lshlrev_b32_e32 v1, 2, v0
	s_waitcnt lgkmcnt(0)
	s_add_u32 s0, s0, s4
	s_addc_u32 s1, s1, s5
	global_load_dword v2, v1, s[0:1]
	global_load_dword v3, v1, s[0:1] offset:1024
	v_lshrrev_b32_e32 v5, 5, v0
	v_or_b32_e32 v6, 0x100, v0
	v_lshlrev_b32_e32 v7, 1, v0
	v_lshrrev_b32_e32 v9, 4, v0
	v_add_lshl_u32 v5, v5, v0, 2
	v_lshrrev_b32_e32 v6, 5, v6
	v_add_lshl_u32 v7, v9, v7, 2
	v_add_lshl_u32 v6, v6, v0, 2
	v_mbcnt_lo_u32_b32 v4, -1, 0
	v_mbcnt_hi_u32_b32 v4, -1, v4
	v_and_b32_e32 v9, 15, v4
	v_cmp_ne_u32_e32 vcc, 0, v9
	v_bfe_i32 v11, v4, 4, 1
	v_or_b32_e32 v10, 63, v0
	v_lshrrev_b32_e32 v8, 6, v0
	s_waitcnt vmcnt(1)
	ds_write_b32 v5, v2
	s_waitcnt vmcnt(0)
	ds_write_b32 v6, v3 offset:1024
	s_waitcnt lgkmcnt(0)
	s_barrier
	ds_read2_b32 v[2:3], v7 offset1:1
	s_waitcnt lgkmcnt(0)
	s_barrier
	v_add_u32_e32 v12, v3, v2
	s_nop 1
	v_mov_b32_dpp v13, v12 row_shr:1 row_mask:0xf bank_mask:0xf
	v_cndmask_b32_e32 v13, 0, v13, vcc
	v_add_u32_e32 v12, v13, v12
	v_cmp_lt_u32_e32 vcc, 1, v9
	s_nop 0
	v_mov_b32_dpp v13, v12 row_shr:2 row_mask:0xf bank_mask:0xf
	v_cndmask_b32_e32 v13, 0, v13, vcc
	v_add_u32_e32 v12, v12, v13
	v_cmp_lt_u32_e32 vcc, 3, v9
	;; [unrolled: 5-line block ×4, first 2 shown]
	s_nop 0
	v_mov_b32_dpp v12, v9 row_bcast:15 row_mask:0xf bank_mask:0xf
	v_and_b32_e32 v11, v11, v12
	v_add_u32_e32 v9, v9, v11
	s_nop 1
	v_mov_b32_dpp v11, v9 row_bcast:31 row_mask:0xf bank_mask:0xf
	v_cndmask_b32_e32 v11, 0, v11, vcc
	v_add_u32_e32 v9, v9, v11
	v_cmp_eq_u32_e32 vcc, v10, v0
	s_and_saveexec_b64 s[0:1], vcc
	s_cbranch_execz .LBB33_2
; %bb.1:
	v_lshlrev_b32_e32 v10, 2, v8
	ds_write_b32 v10, v9
.LBB33_2:
	s_or_b64 exec, exec, s[0:1]
	v_cmp_gt_u32_e32 vcc, 4, v0
	s_waitcnt lgkmcnt(0)
	s_barrier
	s_and_saveexec_b64 s[0:1], vcc
	s_cbranch_execz .LBB33_4
; %bb.3:
	ds_read_b32 v10, v1
	v_and_b32_e32 v11, 3, v4
	v_cmp_ne_u32_e32 vcc, 0, v11
	s_waitcnt lgkmcnt(0)
	v_mov_b32_dpp v12, v10 row_shr:1 row_mask:0xf bank_mask:0xf
	v_cndmask_b32_e32 v12, 0, v12, vcc
	v_add_u32_e32 v10, v12, v10
	v_cmp_lt_u32_e32 vcc, 1, v11
	s_nop 0
	v_mov_b32_dpp v12, v10 row_shr:2 row_mask:0xf bank_mask:0xf
	v_cndmask_b32_e32 v11, 0, v12, vcc
	v_add_u32_e32 v10, v10, v11
	ds_write_b32 v1, v10
.LBB33_4:
	s_or_b64 exec, exec, s[0:1]
	v_cmp_lt_u32_e32 vcc, 63, v0
	s_waitcnt lgkmcnt(0)
	s_barrier
	s_waitcnt lgkmcnt(0)
                                        ; implicit-def: $vgpr10
	s_and_saveexec_b64 s[0:1], vcc
	s_cbranch_execz .LBB33_6
; %bb.5:
	v_lshl_add_u32 v8, v8, 2, -4
	ds_read_b32 v10, v8
	s_waitcnt lgkmcnt(0)
	v_add_u32_e32 v9, v10, v9
.LBB33_6:
	s_or_b64 exec, exec, s[0:1]
	v_add_u32_e32 v8, -1, v4
	v_and_b32_e32 v11, 64, v4
	v_cmp_lt_i32_e32 vcc, v8, v11
	v_cndmask_b32_e32 v8, v8, v4, vcc
	v_lshlrev_b32_e32 v8, 2, v8
	ds_bpermute_b32 v8, v8, v9
	v_cmp_eq_u32_e32 vcc, 0, v4
	s_waitcnt lgkmcnt(0)
	s_barrier
	v_cndmask_b32_e32 v4, v8, v10, vcc
	v_cmp_ne_u32_e32 vcc, 0, v0
	v_cndmask_b32_e32 v0, 0, v4, vcc
	v_add_u32_e32 v0, v0, v2
	v_add_u32_e32 v2, v0, v3
	ds_write2_b32 v7, v0, v2 offset1:1
	s_waitcnt lgkmcnt(0)
	s_barrier
	ds_read_b32 v0, v5
	ds_read_b32 v2, v6 offset:1024
	s_add_u32 s0, s2, s4
	s_addc_u32 s1, s3, s5
	s_waitcnt lgkmcnt(1)
	global_store_dword v1, v0, s[0:1]
	s_waitcnt lgkmcnt(0)
	global_store_dword v1, v2, s[0:1] offset:1024
	s_endpgm
	.section	.rodata,"a",@progbits
	.p2align	6, 0x0
	.amdhsa_kernel _Z16operation_kernelIiLj256ELj2EL23memory_operation_method3E9operationIL16kernel_operation1EiLj2ELj256EEEvPT_S5_T3_
		.amdhsa_group_segment_fixed_size 2112
		.amdhsa_private_segment_fixed_size 0
		.amdhsa_kernarg_size 20
		.amdhsa_user_sgpr_count 6
		.amdhsa_user_sgpr_private_segment_buffer 1
		.amdhsa_user_sgpr_dispatch_ptr 0
		.amdhsa_user_sgpr_queue_ptr 0
		.amdhsa_user_sgpr_kernarg_segment_ptr 1
		.amdhsa_user_sgpr_dispatch_id 0
		.amdhsa_user_sgpr_flat_scratch_init 0
		.amdhsa_user_sgpr_kernarg_preload_length 0
		.amdhsa_user_sgpr_kernarg_preload_offset 0
		.amdhsa_user_sgpr_private_segment_size 0
		.amdhsa_uses_dynamic_stack 0
		.amdhsa_system_sgpr_private_segment_wavefront_offset 0
		.amdhsa_system_sgpr_workgroup_id_x 1
		.amdhsa_system_sgpr_workgroup_id_y 0
		.amdhsa_system_sgpr_workgroup_id_z 0
		.amdhsa_system_sgpr_workgroup_info 0
		.amdhsa_system_vgpr_workitem_id 0
		.amdhsa_next_free_vgpr 14
		.amdhsa_next_free_sgpr 7
		.amdhsa_accum_offset 16
		.amdhsa_reserve_vcc 1
		.amdhsa_reserve_flat_scratch 0
		.amdhsa_float_round_mode_32 0
		.amdhsa_float_round_mode_16_64 0
		.amdhsa_float_denorm_mode_32 3
		.amdhsa_float_denorm_mode_16_64 3
		.amdhsa_dx10_clamp 1
		.amdhsa_ieee_mode 1
		.amdhsa_fp16_overflow 0
		.amdhsa_tg_split 0
		.amdhsa_exception_fp_ieee_invalid_op 0
		.amdhsa_exception_fp_denorm_src 0
		.amdhsa_exception_fp_ieee_div_zero 0
		.amdhsa_exception_fp_ieee_overflow 0
		.amdhsa_exception_fp_ieee_underflow 0
		.amdhsa_exception_fp_ieee_inexact 0
		.amdhsa_exception_int_div_zero 0
	.end_amdhsa_kernel
	.section	.text._Z16operation_kernelIiLj256ELj2EL23memory_operation_method3E9operationIL16kernel_operation1EiLj2ELj256EEEvPT_S5_T3_,"axG",@progbits,_Z16operation_kernelIiLj256ELj2EL23memory_operation_method3E9operationIL16kernel_operation1EiLj2ELj256EEEvPT_S5_T3_,comdat
.Lfunc_end33:
	.size	_Z16operation_kernelIiLj256ELj2EL23memory_operation_method3E9operationIL16kernel_operation1EiLj2ELj256EEEvPT_S5_T3_, .Lfunc_end33-_Z16operation_kernelIiLj256ELj2EL23memory_operation_method3E9operationIL16kernel_operation1EiLj2ELj256EEEvPT_S5_T3_
                                        ; -- End function
	.section	.AMDGPU.csdata,"",@progbits
; Kernel info:
; codeLenInByte = 628
; NumSgprs: 11
; NumVgprs: 14
; NumAgprs: 0
; TotalNumVgprs: 14
; ScratchSize: 0
; MemoryBound: 0
; FloatMode: 240
; IeeeMode: 1
; LDSByteSize: 2112 bytes/workgroup (compile time only)
; SGPRBlocks: 1
; VGPRBlocks: 1
; NumSGPRsForWavesPerEU: 11
; NumVGPRsForWavesPerEU: 14
; AccumOffset: 16
; Occupancy: 8
; WaveLimiterHint : 1
; COMPUTE_PGM_RSRC2:SCRATCH_EN: 0
; COMPUTE_PGM_RSRC2:USER_SGPR: 6
; COMPUTE_PGM_RSRC2:TRAP_HANDLER: 0
; COMPUTE_PGM_RSRC2:TGID_X_EN: 1
; COMPUTE_PGM_RSRC2:TGID_Y_EN: 0
; COMPUTE_PGM_RSRC2:TGID_Z_EN: 0
; COMPUTE_PGM_RSRC2:TIDIG_COMP_CNT: 0
; COMPUTE_PGM_RSRC3_GFX90A:ACCUM_OFFSET: 3
; COMPUTE_PGM_RSRC3_GFX90A:TG_SPLIT: 0
	.section	.text._Z16operation_kernelIiLj256ELj4EL23memory_operation_method3E9operationIL16kernel_operation1EiLj4ELj256EEEvPT_S5_T3_,"axG",@progbits,_Z16operation_kernelIiLj256ELj4EL23memory_operation_method3E9operationIL16kernel_operation1EiLj4ELj256EEEvPT_S5_T3_,comdat
	.protected	_Z16operation_kernelIiLj256ELj4EL23memory_operation_method3E9operationIL16kernel_operation1EiLj4ELj256EEEvPT_S5_T3_ ; -- Begin function _Z16operation_kernelIiLj256ELj4EL23memory_operation_method3E9operationIL16kernel_operation1EiLj4ELj256EEEvPT_S5_T3_
	.globl	_Z16operation_kernelIiLj256ELj4EL23memory_operation_method3E9operationIL16kernel_operation1EiLj4ELj256EEEvPT_S5_T3_
	.p2align	8
	.type	_Z16operation_kernelIiLj256ELj4EL23memory_operation_method3E9operationIL16kernel_operation1EiLj4ELj256EEEvPT_S5_T3_,@function
_Z16operation_kernelIiLj256ELj4EL23memory_operation_method3E9operationIL16kernel_operation1EiLj4ELj256EEEvPT_S5_T3_: ; @_Z16operation_kernelIiLj256ELj4EL23memory_operation_method3E9operationIL16kernel_operation1EiLj4ELj256EEEvPT_S5_T3_
; %bb.0:
	s_load_dwordx4 s[0:3], s[4:5], 0x0
	s_lshl_b32 s4, s6, 10
	s_mov_b32 s5, 0
	s_lshl_b64 s[4:5], s[4:5], 2
	v_lshlrev_b32_e32 v1, 2, v0
	s_waitcnt lgkmcnt(0)
	s_add_u32 s0, s0, s4
	s_addc_u32 s1, s1, s5
	global_load_dword v2, v1, s[0:1]
	global_load_dword v3, v1, s[0:1] offset:1024
	global_load_dword v4, v1, s[0:1] offset:2048
	;; [unrolled: 1-line block ×3, first 2 shown]
	v_lshrrev_b32_e32 v7, 5, v0
	v_or_b32_e32 v8, 0x100, v0
	v_or_b32_e32 v9, 0x200, v0
	;; [unrolled: 1-line block ×3, first 2 shown]
	v_lshrrev_b32_e32 v11, 3, v0
	v_add_lshl_u32 v7, v7, v0, 2
	v_lshrrev_b32_e32 v8, 5, v8
	v_lshrrev_b32_e32 v9, 5, v9
	;; [unrolled: 1-line block ×3, first 2 shown]
	v_add_lshl_u32 v11, v11, v1, 2
	v_add_lshl_u32 v8, v8, v0, 2
	;; [unrolled: 1-line block ×4, first 2 shown]
	v_mbcnt_lo_u32_b32 v6, -1, 0
	v_mbcnt_hi_u32_b32 v6, -1, v6
	v_and_b32_e32 v13, 15, v6
	v_cmp_ne_u32_e32 vcc, 0, v13
	v_bfe_i32 v15, v6, 4, 1
	v_or_b32_e32 v14, 63, v0
	v_lshrrev_b32_e32 v12, 6, v0
	s_waitcnt vmcnt(3)
	ds_write_b32 v7, v2
	s_waitcnt vmcnt(2)
	ds_write_b32 v8, v3 offset:1024
	s_waitcnt vmcnt(1)
	ds_write_b32 v9, v4 offset:2048
	;; [unrolled: 2-line block ×3, first 2 shown]
	s_waitcnt lgkmcnt(0)
	s_barrier
	ds_read2_b32 v[4:5], v11 offset1:1
	ds_read2_b32 v[2:3], v11 offset0:2 offset1:3
	s_waitcnt lgkmcnt(0)
	s_barrier
	v_add_u32_e32 v16, v5, v4
	v_add3_u32 v16, v16, v2, v3
	s_nop 1
	v_mov_b32_dpp v17, v16 row_shr:1 row_mask:0xf bank_mask:0xf
	v_cndmask_b32_e32 v17, 0, v17, vcc
	v_add_u32_e32 v16, v17, v16
	v_cmp_lt_u32_e32 vcc, 1, v13
	s_nop 0
	v_mov_b32_dpp v17, v16 row_shr:2 row_mask:0xf bank_mask:0xf
	v_cndmask_b32_e32 v17, 0, v17, vcc
	v_add_u32_e32 v16, v16, v17
	v_cmp_lt_u32_e32 vcc, 3, v13
	;; [unrolled: 5-line block ×4, first 2 shown]
	s_nop 0
	v_mov_b32_dpp v16, v13 row_bcast:15 row_mask:0xf bank_mask:0xf
	v_and_b32_e32 v15, v15, v16
	v_add_u32_e32 v13, v13, v15
	s_nop 1
	v_mov_b32_dpp v15, v13 row_bcast:31 row_mask:0xf bank_mask:0xf
	v_cndmask_b32_e32 v15, 0, v15, vcc
	v_add_u32_e32 v13, v13, v15
	v_cmp_eq_u32_e32 vcc, v14, v0
	s_and_saveexec_b64 s[0:1], vcc
	s_cbranch_execz .LBB34_2
; %bb.1:
	v_lshlrev_b32_e32 v14, 2, v12
	ds_write_b32 v14, v13
.LBB34_2:
	s_or_b64 exec, exec, s[0:1]
	v_cmp_gt_u32_e32 vcc, 4, v0
	s_waitcnt lgkmcnt(0)
	s_barrier
	s_and_saveexec_b64 s[0:1], vcc
	s_cbranch_execz .LBB34_4
; %bb.3:
	ds_read_b32 v14, v1
	v_and_b32_e32 v15, 3, v6
	v_cmp_ne_u32_e32 vcc, 0, v15
	s_waitcnt lgkmcnt(0)
	v_mov_b32_dpp v16, v14 row_shr:1 row_mask:0xf bank_mask:0xf
	v_cndmask_b32_e32 v16, 0, v16, vcc
	v_add_u32_e32 v14, v16, v14
	v_cmp_lt_u32_e32 vcc, 1, v15
	s_nop 0
	v_mov_b32_dpp v16, v14 row_shr:2 row_mask:0xf bank_mask:0xf
	v_cndmask_b32_e32 v15, 0, v16, vcc
	v_add_u32_e32 v14, v14, v15
	ds_write_b32 v1, v14
.LBB34_4:
	s_or_b64 exec, exec, s[0:1]
	v_cmp_lt_u32_e32 vcc, 63, v0
	s_waitcnt lgkmcnt(0)
	s_barrier
	s_waitcnt lgkmcnt(0)
                                        ; implicit-def: $vgpr14
	s_and_saveexec_b64 s[0:1], vcc
	s_cbranch_execz .LBB34_6
; %bb.5:
	v_lshl_add_u32 v12, v12, 2, -4
	ds_read_b32 v14, v12
	s_waitcnt lgkmcnt(0)
	v_add_u32_e32 v13, v14, v13
.LBB34_6:
	s_or_b64 exec, exec, s[0:1]
	v_add_u32_e32 v12, -1, v6
	v_and_b32_e32 v15, 64, v6
	v_cmp_lt_i32_e32 vcc, v12, v15
	v_cndmask_b32_e32 v12, v12, v6, vcc
	v_lshlrev_b32_e32 v12, 2, v12
	ds_bpermute_b32 v12, v12, v13
	v_cmp_eq_u32_e32 vcc, 0, v6
	s_waitcnt lgkmcnt(0)
	s_barrier
	v_cndmask_b32_e32 v6, v12, v14, vcc
	v_cmp_ne_u32_e32 vcc, 0, v0
	v_cndmask_b32_e32 v0, 0, v6, vcc
	v_add_u32_e32 v0, v0, v4
	v_add_u32_e32 v4, v0, v5
	;; [unrolled: 1-line block ×4, first 2 shown]
	ds_write2_b32 v11, v0, v4 offset1:1
	ds_write2_b32 v11, v2, v3 offset0:2 offset1:3
	s_waitcnt lgkmcnt(0)
	s_barrier
	ds_read_b32 v0, v7
	ds_read_b32 v2, v8 offset:1024
	ds_read_b32 v3, v9 offset:2048
	;; [unrolled: 1-line block ×3, first 2 shown]
	s_add_u32 s0, s2, s4
	s_addc_u32 s1, s3, s5
	s_waitcnt lgkmcnt(3)
	global_store_dword v1, v0, s[0:1]
	s_waitcnt lgkmcnt(2)
	global_store_dword v1, v2, s[0:1] offset:1024
	s_waitcnt lgkmcnt(1)
	global_store_dword v1, v3, s[0:1] offset:2048
	;; [unrolled: 2-line block ×3, first 2 shown]
	s_endpgm
	.section	.rodata,"a",@progbits
	.p2align	6, 0x0
	.amdhsa_kernel _Z16operation_kernelIiLj256ELj4EL23memory_operation_method3E9operationIL16kernel_operation1EiLj4ELj256EEEvPT_S5_T3_
		.amdhsa_group_segment_fixed_size 4224
		.amdhsa_private_segment_fixed_size 0
		.amdhsa_kernarg_size 20
		.amdhsa_user_sgpr_count 6
		.amdhsa_user_sgpr_private_segment_buffer 1
		.amdhsa_user_sgpr_dispatch_ptr 0
		.amdhsa_user_sgpr_queue_ptr 0
		.amdhsa_user_sgpr_kernarg_segment_ptr 1
		.amdhsa_user_sgpr_dispatch_id 0
		.amdhsa_user_sgpr_flat_scratch_init 0
		.amdhsa_user_sgpr_kernarg_preload_length 0
		.amdhsa_user_sgpr_kernarg_preload_offset 0
		.amdhsa_user_sgpr_private_segment_size 0
		.amdhsa_uses_dynamic_stack 0
		.amdhsa_system_sgpr_private_segment_wavefront_offset 0
		.amdhsa_system_sgpr_workgroup_id_x 1
		.amdhsa_system_sgpr_workgroup_id_y 0
		.amdhsa_system_sgpr_workgroup_id_z 0
		.amdhsa_system_sgpr_workgroup_info 0
		.amdhsa_system_vgpr_workitem_id 0
		.amdhsa_next_free_vgpr 18
		.amdhsa_next_free_sgpr 7
		.amdhsa_accum_offset 20
		.amdhsa_reserve_vcc 1
		.amdhsa_reserve_flat_scratch 0
		.amdhsa_float_round_mode_32 0
		.amdhsa_float_round_mode_16_64 0
		.amdhsa_float_denorm_mode_32 3
		.amdhsa_float_denorm_mode_16_64 3
		.amdhsa_dx10_clamp 1
		.amdhsa_ieee_mode 1
		.amdhsa_fp16_overflow 0
		.amdhsa_tg_split 0
		.amdhsa_exception_fp_ieee_invalid_op 0
		.amdhsa_exception_fp_denorm_src 0
		.amdhsa_exception_fp_ieee_div_zero 0
		.amdhsa_exception_fp_ieee_overflow 0
		.amdhsa_exception_fp_ieee_underflow 0
		.amdhsa_exception_fp_ieee_inexact 0
		.amdhsa_exception_int_div_zero 0
	.end_amdhsa_kernel
	.section	.text._Z16operation_kernelIiLj256ELj4EL23memory_operation_method3E9operationIL16kernel_operation1EiLj4ELj256EEEvPT_S5_T3_,"axG",@progbits,_Z16operation_kernelIiLj256ELj4EL23memory_operation_method3E9operationIL16kernel_operation1EiLj4ELj256EEEvPT_S5_T3_,comdat
.Lfunc_end34:
	.size	_Z16operation_kernelIiLj256ELj4EL23memory_operation_method3E9operationIL16kernel_operation1EiLj4ELj256EEEvPT_S5_T3_, .Lfunc_end34-_Z16operation_kernelIiLj256ELj4EL23memory_operation_method3E9operationIL16kernel_operation1EiLj4ELj256EEEvPT_S5_T3_
                                        ; -- End function
	.section	.AMDGPU.csdata,"",@progbits
; Kernel info:
; codeLenInByte = 776
; NumSgprs: 11
; NumVgprs: 18
; NumAgprs: 0
; TotalNumVgprs: 18
; ScratchSize: 0
; MemoryBound: 0
; FloatMode: 240
; IeeeMode: 1
; LDSByteSize: 4224 bytes/workgroup (compile time only)
; SGPRBlocks: 1
; VGPRBlocks: 2
; NumSGPRsForWavesPerEU: 11
; NumVGPRsForWavesPerEU: 18
; AccumOffset: 20
; Occupancy: 8
; WaveLimiterHint : 1
; COMPUTE_PGM_RSRC2:SCRATCH_EN: 0
; COMPUTE_PGM_RSRC2:USER_SGPR: 6
; COMPUTE_PGM_RSRC2:TRAP_HANDLER: 0
; COMPUTE_PGM_RSRC2:TGID_X_EN: 1
; COMPUTE_PGM_RSRC2:TGID_Y_EN: 0
; COMPUTE_PGM_RSRC2:TGID_Z_EN: 0
; COMPUTE_PGM_RSRC2:TIDIG_COMP_CNT: 0
; COMPUTE_PGM_RSRC3_GFX90A:ACCUM_OFFSET: 4
; COMPUTE_PGM_RSRC3_GFX90A:TG_SPLIT: 0
	.section	.text._Z16operation_kernelIiLj256ELj8EL23memory_operation_method3E9operationIL16kernel_operation1EiLj8ELj256EEEvPT_S5_T3_,"axG",@progbits,_Z16operation_kernelIiLj256ELj8EL23memory_operation_method3E9operationIL16kernel_operation1EiLj8ELj256EEEvPT_S5_T3_,comdat
	.protected	_Z16operation_kernelIiLj256ELj8EL23memory_operation_method3E9operationIL16kernel_operation1EiLj8ELj256EEEvPT_S5_T3_ ; -- Begin function _Z16operation_kernelIiLj256ELj8EL23memory_operation_method3E9operationIL16kernel_operation1EiLj8ELj256EEEvPT_S5_T3_
	.globl	_Z16operation_kernelIiLj256ELj8EL23memory_operation_method3E9operationIL16kernel_operation1EiLj8ELj256EEEvPT_S5_T3_
	.p2align	8
	.type	_Z16operation_kernelIiLj256ELj8EL23memory_operation_method3E9operationIL16kernel_operation1EiLj8ELj256EEEvPT_S5_T3_,@function
_Z16operation_kernelIiLj256ELj8EL23memory_operation_method3E9operationIL16kernel_operation1EiLj8ELj256EEEvPT_S5_T3_: ; @_Z16operation_kernelIiLj256ELj8EL23memory_operation_method3E9operationIL16kernel_operation1EiLj8ELj256EEEvPT_S5_T3_
; %bb.0:
	s_load_dwordx4 s[0:3], s[4:5], 0x0
	s_lshl_b32 s4, s6, 11
	s_mov_b32 s5, 0
	s_lshl_b64 s[4:5], s[4:5], 2
	v_lshlrev_b32_e32 v1, 2, v0
	s_waitcnt lgkmcnt(0)
	s_add_u32 s0, s0, s4
	s_addc_u32 s1, s1, s5
	v_mov_b32_e32 v2, s1
	v_add_co_u32_e32 v3, vcc, s0, v1
	v_addc_co_u32_e32 v4, vcc, 0, v2, vcc
	s_movk_i32 s6, 0x1000
	v_add_co_u32_e32 v2, vcc, s6, v3
	v_addc_co_u32_e32 v3, vcc, 0, v4, vcc
	global_load_dword v4, v1, s[0:1]
	global_load_dword v5, v1, s[0:1] offset:1024
	global_load_dword v6, v1, s[0:1] offset:2048
	;; [unrolled: 1-line block ×3, first 2 shown]
	global_load_dword v8, v[2:3], off
	global_load_dword v9, v[2:3], off offset:1024
	global_load_dword v21, v[2:3], off offset:2048
	;; [unrolled: 1-line block ×3, first 2 shown]
	v_mbcnt_lo_u32_b32 v2, -1, 0
	v_lshrrev_b32_e32 v3, 5, v0
	v_or_b32_e32 v12, 0x100, v0
	v_or_b32_e32 v13, 0x200, v0
	v_or_b32_e32 v14, 0x300, v0
	v_or_b32_e32 v15, 0x400, v0
	v_or_b32_e32 v16, 0x500, v0
	v_or_b32_e32 v17, 0x600, v0
	v_or_b32_e32 v18, 0x700, v0
	v_lshlrev_b32_e32 v19, 3, v0
	v_lshrrev_b32_e32 v23, 2, v0
	v_mbcnt_hi_u32_b32 v10, -1, v2
	v_add_lshl_u32 v11, v3, v0, 2
	v_lshrrev_b32_e32 v2, 5, v12
	v_lshrrev_b32_e32 v3, 5, v13
	;; [unrolled: 1-line block ×7, first 2 shown]
	v_add_lshl_u32 v19, v23, v19, 2
	v_add_lshl_u32 v12, v2, v0, 2
	;; [unrolled: 1-line block ×8, first 2 shown]
	v_and_b32_e32 v23, 15, v10
	v_cmp_ne_u32_e32 vcc, 0, v23
	v_bfe_i32 v25, v10, 4, 1
	v_or_b32_e32 v24, 63, v0
	v_lshrrev_b32_e32 v20, 6, v0
	s_waitcnt vmcnt(7)
	ds_write_b32 v11, v4
	s_waitcnt vmcnt(6)
	ds_write_b32 v12, v5 offset:1024
	s_waitcnt vmcnt(5)
	ds_write_b32 v13, v6 offset:2048
	;; [unrolled: 2-line block ×7, first 2 shown]
	s_waitcnt lgkmcnt(0)
	s_barrier
	ds_read2_b32 v[8:9], v19 offset1:1
	ds_read2_b32 v[6:7], v19 offset0:2 offset1:3
	ds_read2_b32 v[4:5], v19 offset0:4 offset1:5
	;; [unrolled: 1-line block ×3, first 2 shown]
	s_waitcnt lgkmcnt(0)
	v_add_u32_e32 v21, v9, v8
	v_add3_u32 v21, v21, v6, v7
	v_add3_u32 v21, v21, v4, v5
	;; [unrolled: 1-line block ×3, first 2 shown]
	s_barrier
	s_nop 0
	v_mov_b32_dpp v22, v21 row_shr:1 row_mask:0xf bank_mask:0xf
	v_cndmask_b32_e32 v22, 0, v22, vcc
	v_add_u32_e32 v21, v22, v21
	v_cmp_lt_u32_e32 vcc, 1, v23
	s_nop 0
	v_mov_b32_dpp v22, v21 row_shr:2 row_mask:0xf bank_mask:0xf
	v_cndmask_b32_e32 v22, 0, v22, vcc
	v_add_u32_e32 v21, v21, v22
	v_cmp_lt_u32_e32 vcc, 3, v23
	;; [unrolled: 5-line block ×4, first 2 shown]
	s_nop 0
	v_mov_b32_dpp v22, v21 row_bcast:15 row_mask:0xf bank_mask:0xf
	v_and_b32_e32 v22, v25, v22
	v_add_u32_e32 v21, v21, v22
	s_nop 1
	v_mov_b32_dpp v22, v21 row_bcast:31 row_mask:0xf bank_mask:0xf
	v_cndmask_b32_e32 v22, 0, v22, vcc
	v_add_u32_e32 v21, v21, v22
	v_cmp_eq_u32_e32 vcc, v24, v0
	s_and_saveexec_b64 s[0:1], vcc
	s_cbranch_execz .LBB35_2
; %bb.1:
	v_lshlrev_b32_e32 v22, 2, v20
	ds_write_b32 v22, v21
.LBB35_2:
	s_or_b64 exec, exec, s[0:1]
	v_cmp_gt_u32_e32 vcc, 4, v0
	s_waitcnt lgkmcnt(0)
	s_barrier
	s_and_saveexec_b64 s[0:1], vcc
	s_cbranch_execz .LBB35_4
; %bb.3:
	ds_read_b32 v22, v1
	v_and_b32_e32 v23, 3, v10
	v_cmp_ne_u32_e32 vcc, 0, v23
	s_waitcnt lgkmcnt(0)
	v_mov_b32_dpp v24, v22 row_shr:1 row_mask:0xf bank_mask:0xf
	v_cndmask_b32_e32 v24, 0, v24, vcc
	v_add_u32_e32 v22, v24, v22
	v_cmp_lt_u32_e32 vcc, 1, v23
	s_nop 0
	v_mov_b32_dpp v24, v22 row_shr:2 row_mask:0xf bank_mask:0xf
	v_cndmask_b32_e32 v23, 0, v24, vcc
	v_add_u32_e32 v22, v22, v23
	ds_write_b32 v1, v22
.LBB35_4:
	s_or_b64 exec, exec, s[0:1]
	v_cmp_lt_u32_e32 vcc, 63, v0
	s_waitcnt lgkmcnt(0)
	s_barrier
	s_waitcnt lgkmcnt(0)
                                        ; implicit-def: $vgpr22
	s_and_saveexec_b64 s[0:1], vcc
	s_cbranch_execz .LBB35_6
; %bb.5:
	v_lshl_add_u32 v20, v20, 2, -4
	ds_read_b32 v22, v20
	s_waitcnt lgkmcnt(0)
	v_add_u32_e32 v21, v22, v21
.LBB35_6:
	s_or_b64 exec, exec, s[0:1]
	v_add_u32_e32 v20, -1, v10
	v_and_b32_e32 v23, 64, v10
	v_cmp_lt_i32_e32 vcc, v20, v23
	v_cndmask_b32_e32 v20, v20, v10, vcc
	v_lshlrev_b32_e32 v20, 2, v20
	ds_bpermute_b32 v20, v20, v21
	v_cmp_eq_u32_e32 vcc, 0, v10
	s_add_u32 s0, s2, s4
	s_waitcnt lgkmcnt(0)
	s_barrier
	v_cndmask_b32_e32 v10, v20, v22, vcc
	v_cmp_ne_u32_e32 vcc, 0, v0
	v_cndmask_b32_e32 v0, 0, v10, vcc
	v_add_u32_e32 v0, v0, v8
	v_add_u32_e32 v8, v0, v9
	v_add_u32_e32 v6, v8, v6
	v_add_u32_e32 v7, v6, v7
	v_add_u32_e32 v4, v7, v4
	v_add_u32_e32 v5, v4, v5
	v_add_u32_e32 v2, v5, v2
	v_add_u32_e32 v3, v2, v3
	s_addc_u32 s1, s3, s5
	ds_write2_b32 v19, v0, v8 offset1:1
	ds_write2_b32 v19, v6, v7 offset0:2 offset1:3
	ds_write2_b32 v19, v4, v5 offset0:4 offset1:5
	;; [unrolled: 1-line block ×3, first 2 shown]
	s_waitcnt lgkmcnt(0)
	s_barrier
	ds_read_b32 v0, v11
	ds_read_b32 v2, v12 offset:1024
	ds_read_b32 v3, v13 offset:2048
	;; [unrolled: 1-line block ×7, first 2 shown]
	v_mov_b32_e32 v9, s1
	v_add_co_u32_e32 v10, vcc, s0, v1
	v_addc_co_u32_e32 v9, vcc, 0, v9, vcc
	s_waitcnt lgkmcnt(7)
	global_store_dword v1, v0, s[0:1]
	s_waitcnt lgkmcnt(6)
	global_store_dword v1, v2, s[0:1] offset:1024
	s_waitcnt lgkmcnt(5)
	global_store_dword v1, v3, s[0:1] offset:2048
	;; [unrolled: 2-line block ×3, first 2 shown]
	v_add_co_u32_e32 v0, vcc, 0x1000, v10
	v_addc_co_u32_e32 v1, vcc, 0, v9, vcc
	s_waitcnt lgkmcnt(3)
	global_store_dword v[0:1], v5, off
	s_waitcnt lgkmcnt(2)
	global_store_dword v[0:1], v6, off offset:1024
	s_waitcnt lgkmcnt(1)
	global_store_dword v[0:1], v7, off offset:2048
	;; [unrolled: 2-line block ×3, first 2 shown]
	s_endpgm
	.section	.rodata,"a",@progbits
	.p2align	6, 0x0
	.amdhsa_kernel _Z16operation_kernelIiLj256ELj8EL23memory_operation_method3E9operationIL16kernel_operation1EiLj8ELj256EEEvPT_S5_T3_
		.amdhsa_group_segment_fixed_size 8448
		.amdhsa_private_segment_fixed_size 0
		.amdhsa_kernarg_size 20
		.amdhsa_user_sgpr_count 6
		.amdhsa_user_sgpr_private_segment_buffer 1
		.amdhsa_user_sgpr_dispatch_ptr 0
		.amdhsa_user_sgpr_queue_ptr 0
		.amdhsa_user_sgpr_kernarg_segment_ptr 1
		.amdhsa_user_sgpr_dispatch_id 0
		.amdhsa_user_sgpr_flat_scratch_init 0
		.amdhsa_user_sgpr_kernarg_preload_length 0
		.amdhsa_user_sgpr_kernarg_preload_offset 0
		.amdhsa_user_sgpr_private_segment_size 0
		.amdhsa_uses_dynamic_stack 0
		.amdhsa_system_sgpr_private_segment_wavefront_offset 0
		.amdhsa_system_sgpr_workgroup_id_x 1
		.amdhsa_system_sgpr_workgroup_id_y 0
		.amdhsa_system_sgpr_workgroup_id_z 0
		.amdhsa_system_sgpr_workgroup_info 0
		.amdhsa_system_vgpr_workitem_id 0
		.amdhsa_next_free_vgpr 26
		.amdhsa_next_free_sgpr 7
		.amdhsa_accum_offset 28
		.amdhsa_reserve_vcc 1
		.amdhsa_reserve_flat_scratch 0
		.amdhsa_float_round_mode_32 0
		.amdhsa_float_round_mode_16_64 0
		.amdhsa_float_denorm_mode_32 3
		.amdhsa_float_denorm_mode_16_64 3
		.amdhsa_dx10_clamp 1
		.amdhsa_ieee_mode 1
		.amdhsa_fp16_overflow 0
		.amdhsa_tg_split 0
		.amdhsa_exception_fp_ieee_invalid_op 0
		.amdhsa_exception_fp_denorm_src 0
		.amdhsa_exception_fp_ieee_div_zero 0
		.amdhsa_exception_fp_ieee_overflow 0
		.amdhsa_exception_fp_ieee_underflow 0
		.amdhsa_exception_fp_ieee_inexact 0
		.amdhsa_exception_int_div_zero 0
	.end_amdhsa_kernel
	.section	.text._Z16operation_kernelIiLj256ELj8EL23memory_operation_method3E9operationIL16kernel_operation1EiLj8ELj256EEEvPT_S5_T3_,"axG",@progbits,_Z16operation_kernelIiLj256ELj8EL23memory_operation_method3E9operationIL16kernel_operation1EiLj8ELj256EEEvPT_S5_T3_,comdat
.Lfunc_end35:
	.size	_Z16operation_kernelIiLj256ELj8EL23memory_operation_method3E9operationIL16kernel_operation1EiLj8ELj256EEEvPT_S5_T3_, .Lfunc_end35-_Z16operation_kernelIiLj256ELj8EL23memory_operation_method3E9operationIL16kernel_operation1EiLj8ELj256EEEvPT_S5_T3_
                                        ; -- End function
	.section	.AMDGPU.csdata,"",@progbits
; Kernel info:
; codeLenInByte = 1132
; NumSgprs: 11
; NumVgprs: 26
; NumAgprs: 0
; TotalNumVgprs: 26
; ScratchSize: 0
; MemoryBound: 0
; FloatMode: 240
; IeeeMode: 1
; LDSByteSize: 8448 bytes/workgroup (compile time only)
; SGPRBlocks: 1
; VGPRBlocks: 3
; NumSGPRsForWavesPerEU: 11
; NumVGPRsForWavesPerEU: 26
; AccumOffset: 28
; Occupancy: 7
; WaveLimiterHint : 1
; COMPUTE_PGM_RSRC2:SCRATCH_EN: 0
; COMPUTE_PGM_RSRC2:USER_SGPR: 6
; COMPUTE_PGM_RSRC2:TRAP_HANDLER: 0
; COMPUTE_PGM_RSRC2:TGID_X_EN: 1
; COMPUTE_PGM_RSRC2:TGID_Y_EN: 0
; COMPUTE_PGM_RSRC2:TGID_Z_EN: 0
; COMPUTE_PGM_RSRC2:TIDIG_COMP_CNT: 0
; COMPUTE_PGM_RSRC3_GFX90A:ACCUM_OFFSET: 6
; COMPUTE_PGM_RSRC3_GFX90A:TG_SPLIT: 0
	.section	.text._Z16operation_kernelIiLj256ELj1EL23memory_operation_method4E9operationIL16kernel_operation1EiLj1ELj256EEEvPT_S5_T3_,"axG",@progbits,_Z16operation_kernelIiLj256ELj1EL23memory_operation_method4E9operationIL16kernel_operation1EiLj1ELj256EEEvPT_S5_T3_,comdat
	.protected	_Z16operation_kernelIiLj256ELj1EL23memory_operation_method4E9operationIL16kernel_operation1EiLj1ELj256EEEvPT_S5_T3_ ; -- Begin function _Z16operation_kernelIiLj256ELj1EL23memory_operation_method4E9operationIL16kernel_operation1EiLj1ELj256EEEvPT_S5_T3_
	.globl	_Z16operation_kernelIiLj256ELj1EL23memory_operation_method4E9operationIL16kernel_operation1EiLj1ELj256EEEvPT_S5_T3_
	.p2align	8
	.type	_Z16operation_kernelIiLj256ELj1EL23memory_operation_method4E9operationIL16kernel_operation1EiLj1ELj256EEEvPT_S5_T3_,@function
_Z16operation_kernelIiLj256ELj1EL23memory_operation_method4E9operationIL16kernel_operation1EiLj1ELj256EEEvPT_S5_T3_: ; @_Z16operation_kernelIiLj256ELj1EL23memory_operation_method4E9operationIL16kernel_operation1EiLj1ELj256EEEvPT_S5_T3_
; %bb.0:
	s_load_dwordx4 s[0:3], s[4:5], 0x0
	s_lshl_b32 s4, s6, 8
	s_mov_b32 s5, 0
	s_lshl_b64 s[4:5], s[4:5], 2
	v_mbcnt_lo_u32_b32 v1, -1, 0
	s_waitcnt lgkmcnt(0)
	s_add_u32 s0, s0, s4
	v_mbcnt_hi_u32_b32 v3, -1, v1
	s_addc_u32 s1, s1, s5
	v_lshlrev_b32_e32 v1, 2, v3
	v_and_b32_e32 v6, 0xc0, v0
	v_mov_b32_e32 v2, s1
	v_add_co_u32_e32 v4, vcc, s0, v1
	v_addc_co_u32_e32 v5, vcc, 0, v2, vcc
	v_lshlrev_b32_e32 v2, 2, v6
	v_add_co_u32_e32 v4, vcc, v4, v2
	v_addc_co_u32_e32 v5, vcc, 0, v5, vcc
	global_load_dword v7, v[4:5], off
	v_add_lshl_u32 v4, v3, v6, 2
	v_and_b32_e32 v8, 15, v3
	v_or_b32_e32 v10, 63, v6
	v_cmp_ne_u32_e32 vcc, 0, v8
	v_bfe_i32 v9, v3, 4, 1
	v_lshrrev_b32_e32 v5, 6, v0
	s_waitcnt vmcnt(0)
	ds_write_b32 v4, v7
	; wave barrier
	ds_read_b32 v7, v4
	s_waitcnt lgkmcnt(0)
	s_barrier
	v_mov_b32_dpp v6, v7 row_shr:1 row_mask:0xf bank_mask:0xf
	v_cndmask_b32_e32 v6, 0, v6, vcc
	v_add_u32_e32 v6, v6, v7
	v_cmp_lt_u32_e32 vcc, 1, v8
	s_nop 0
	v_mov_b32_dpp v7, v6 row_shr:2 row_mask:0xf bank_mask:0xf
	v_cndmask_b32_e32 v7, 0, v7, vcc
	v_add_u32_e32 v6, v6, v7
	v_cmp_lt_u32_e32 vcc, 3, v8
	s_nop 0
	;; [unrolled: 5-line block ×4, first 2 shown]
	v_mov_b32_dpp v7, v6 row_bcast:15 row_mask:0xf bank_mask:0xf
	v_and_b32_e32 v7, v9, v7
	v_add_u32_e32 v6, v6, v7
	s_nop 1
	v_mov_b32_dpp v7, v6 row_bcast:31 row_mask:0xf bank_mask:0xf
	v_cndmask_b32_e32 v7, 0, v7, vcc
	v_add_u32_e32 v6, v6, v7
	v_cmp_eq_u32_e32 vcc, v10, v0
	s_and_saveexec_b64 s[0:1], vcc
	s_cbranch_execz .LBB36_2
; %bb.1:
	v_lshlrev_b32_e32 v7, 2, v5
	ds_write_b32 v7, v6
.LBB36_2:
	s_or_b64 exec, exec, s[0:1]
	v_cmp_gt_u32_e32 vcc, 4, v0
	s_waitcnt lgkmcnt(0)
	s_barrier
	s_and_saveexec_b64 s[0:1], vcc
	s_cbranch_execz .LBB36_4
; %bb.3:
	v_lshlrev_b32_e32 v7, 2, v0
	ds_read_b32 v8, v7
	v_and_b32_e32 v3, 3, v3
	v_cmp_ne_u32_e32 vcc, 0, v3
	s_waitcnt lgkmcnt(0)
	v_mov_b32_dpp v9, v8 row_shr:1 row_mask:0xf bank_mask:0xf
	v_cndmask_b32_e32 v9, 0, v9, vcc
	v_add_u32_e32 v8, v9, v8
	v_cmp_lt_u32_e32 vcc, 1, v3
	s_nop 0
	v_mov_b32_dpp v9, v8 row_shr:2 row_mask:0xf bank_mask:0xf
	v_cndmask_b32_e32 v3, 0, v9, vcc
	v_add_u32_e32 v3, v8, v3
	ds_write_b32 v7, v3
.LBB36_4:
	s_or_b64 exec, exec, s[0:1]
	v_cmp_lt_u32_e32 vcc, 63, v0
	s_waitcnt lgkmcnt(0)
	s_barrier
	s_and_saveexec_b64 s[0:1], vcc
	s_cbranch_execz .LBB36_6
; %bb.5:
	v_lshl_add_u32 v0, v5, 2, -4
	ds_read_b32 v0, v0
	s_waitcnt lgkmcnt(0)
	v_add_u32_e32 v6, v0, v6
.LBB36_6:
	s_or_b64 exec, exec, s[0:1]
	s_add_u32 s0, s2, s4
	s_barrier
	s_addc_u32 s1, s3, s5
	ds_write_b32 v4, v6
	; wave barrier
	ds_read_b32 v3, v4
	v_mov_b32_e32 v0, s1
	v_add_co_u32_e32 v1, vcc, s0, v1
	v_addc_co_u32_e32 v4, vcc, 0, v0, vcc
	v_add_co_u32_e32 v0, vcc, v1, v2
	v_addc_co_u32_e32 v1, vcc, 0, v4, vcc
	s_waitcnt lgkmcnt(0)
	global_store_dword v[0:1], v3, off
	s_endpgm
	.section	.rodata,"a",@progbits
	.p2align	6, 0x0
	.amdhsa_kernel _Z16operation_kernelIiLj256ELj1EL23memory_operation_method4E9operationIL16kernel_operation1EiLj1ELj256EEEvPT_S5_T3_
		.amdhsa_group_segment_fixed_size 1024
		.amdhsa_private_segment_fixed_size 0
		.amdhsa_kernarg_size 20
		.amdhsa_user_sgpr_count 6
		.amdhsa_user_sgpr_private_segment_buffer 1
		.amdhsa_user_sgpr_dispatch_ptr 0
		.amdhsa_user_sgpr_queue_ptr 0
		.amdhsa_user_sgpr_kernarg_segment_ptr 1
		.amdhsa_user_sgpr_dispatch_id 0
		.amdhsa_user_sgpr_flat_scratch_init 0
		.amdhsa_user_sgpr_kernarg_preload_length 0
		.amdhsa_user_sgpr_kernarg_preload_offset 0
		.amdhsa_user_sgpr_private_segment_size 0
		.amdhsa_uses_dynamic_stack 0
		.amdhsa_system_sgpr_private_segment_wavefront_offset 0
		.amdhsa_system_sgpr_workgroup_id_x 1
		.amdhsa_system_sgpr_workgroup_id_y 0
		.amdhsa_system_sgpr_workgroup_id_z 0
		.amdhsa_system_sgpr_workgroup_info 0
		.amdhsa_system_vgpr_workitem_id 0
		.amdhsa_next_free_vgpr 11
		.amdhsa_next_free_sgpr 7
		.amdhsa_accum_offset 12
		.amdhsa_reserve_vcc 1
		.amdhsa_reserve_flat_scratch 0
		.amdhsa_float_round_mode_32 0
		.amdhsa_float_round_mode_16_64 0
		.amdhsa_float_denorm_mode_32 3
		.amdhsa_float_denorm_mode_16_64 3
		.amdhsa_dx10_clamp 1
		.amdhsa_ieee_mode 1
		.amdhsa_fp16_overflow 0
		.amdhsa_tg_split 0
		.amdhsa_exception_fp_ieee_invalid_op 0
		.amdhsa_exception_fp_denorm_src 0
		.amdhsa_exception_fp_ieee_div_zero 0
		.amdhsa_exception_fp_ieee_overflow 0
		.amdhsa_exception_fp_ieee_underflow 0
		.amdhsa_exception_fp_ieee_inexact 0
		.amdhsa_exception_int_div_zero 0
	.end_amdhsa_kernel
	.section	.text._Z16operation_kernelIiLj256ELj1EL23memory_operation_method4E9operationIL16kernel_operation1EiLj1ELj256EEEvPT_S5_T3_,"axG",@progbits,_Z16operation_kernelIiLj256ELj1EL23memory_operation_method4E9operationIL16kernel_operation1EiLj1ELj256EEEvPT_S5_T3_,comdat
.Lfunc_end36:
	.size	_Z16operation_kernelIiLj256ELj1EL23memory_operation_method4E9operationIL16kernel_operation1EiLj1ELj256EEEvPT_S5_T3_, .Lfunc_end36-_Z16operation_kernelIiLj256ELj1EL23memory_operation_method4E9operationIL16kernel_operation1EiLj1ELj256EEEvPT_S5_T3_
                                        ; -- End function
	.section	.AMDGPU.csdata,"",@progbits
; Kernel info:
; codeLenInByte = 520
; NumSgprs: 11
; NumVgprs: 11
; NumAgprs: 0
; TotalNumVgprs: 11
; ScratchSize: 0
; MemoryBound: 0
; FloatMode: 240
; IeeeMode: 1
; LDSByteSize: 1024 bytes/workgroup (compile time only)
; SGPRBlocks: 1
; VGPRBlocks: 1
; NumSGPRsForWavesPerEU: 11
; NumVGPRsForWavesPerEU: 11
; AccumOffset: 12
; Occupancy: 8
; WaveLimiterHint : 0
; COMPUTE_PGM_RSRC2:SCRATCH_EN: 0
; COMPUTE_PGM_RSRC2:USER_SGPR: 6
; COMPUTE_PGM_RSRC2:TRAP_HANDLER: 0
; COMPUTE_PGM_RSRC2:TGID_X_EN: 1
; COMPUTE_PGM_RSRC2:TGID_Y_EN: 0
; COMPUTE_PGM_RSRC2:TGID_Z_EN: 0
; COMPUTE_PGM_RSRC2:TIDIG_COMP_CNT: 0
; COMPUTE_PGM_RSRC3_GFX90A:ACCUM_OFFSET: 2
; COMPUTE_PGM_RSRC3_GFX90A:TG_SPLIT: 0
	.section	.text._Z16operation_kernelIiLj256ELj2EL23memory_operation_method4E9operationIL16kernel_operation1EiLj2ELj256EEEvPT_S5_T3_,"axG",@progbits,_Z16operation_kernelIiLj256ELj2EL23memory_operation_method4E9operationIL16kernel_operation1EiLj2ELj256EEEvPT_S5_T3_,comdat
	.protected	_Z16operation_kernelIiLj256ELj2EL23memory_operation_method4E9operationIL16kernel_operation1EiLj2ELj256EEEvPT_S5_T3_ ; -- Begin function _Z16operation_kernelIiLj256ELj2EL23memory_operation_method4E9operationIL16kernel_operation1EiLj2ELj256EEEvPT_S5_T3_
	.globl	_Z16operation_kernelIiLj256ELj2EL23memory_operation_method4E9operationIL16kernel_operation1EiLj2ELj256EEEvPT_S5_T3_
	.p2align	8
	.type	_Z16operation_kernelIiLj256ELj2EL23memory_operation_method4E9operationIL16kernel_operation1EiLj2ELj256EEEvPT_S5_T3_,@function
_Z16operation_kernelIiLj256ELj2EL23memory_operation_method4E9operationIL16kernel_operation1EiLj2ELj256EEEvPT_S5_T3_: ; @_Z16operation_kernelIiLj256ELj2EL23memory_operation_method4E9operationIL16kernel_operation1EiLj2ELj256EEEvPT_S5_T3_
; %bb.0:
	s_load_dwordx4 s[0:3], s[4:5], 0x0
	s_lshl_b32 s4, s6, 9
	s_mov_b32 s5, 0
	s_lshl_b64 s[4:5], s[4:5], 2
	v_mbcnt_lo_u32_b32 v1, -1, 0
	s_waitcnt lgkmcnt(0)
	s_add_u32 s0, s0, s4
	v_mbcnt_hi_u32_b32 v5, -1, v1
	v_lshlrev_b32_e32 v1, 1, v0
	s_addc_u32 s1, s1, s5
	v_and_b32_e32 v6, 0x180, v1
	v_lshlrev_b32_e32 v1, 2, v5
	v_mov_b32_e32 v2, s1
	v_add_co_u32_e32 v3, vcc, s0, v1
	v_addc_co_u32_e32 v7, vcc, 0, v2, vcc
	v_lshlrev_b32_e32 v4, 2, v6
	v_add_co_u32_e32 v2, vcc, v3, v4
	v_addc_co_u32_e32 v3, vcc, 0, v7, vcc
	global_load_dword v10, v[2:3], off
	global_load_dword v11, v[2:3], off offset:256
	v_and_b32_e32 v12, 0xc0, v0
	v_add_u32_e32 v2, v5, v12
	v_or_b32_e32 v3, v5, v6
	v_lshlrev_b32_e32 v6, 1, v2
	v_bfe_u32 v2, v2, 4, 27
	v_lshrrev_b32_e32 v7, 5, v3
	v_add_u32_e32 v15, 64, v3
	v_add_lshl_u32 v8, v2, v6, 2
	v_add_lshl_u32 v6, v7, v3, 2
	v_lshrrev_b32_e32 v2, 5, v15
	v_add_lshl_u32 v7, v2, v15, 2
	v_and_b32_e32 v13, 15, v5
	v_cmp_ne_u32_e32 vcc, 0, v13
	v_bfe_i32 v14, v5, 4, 1
	v_lshrrev_b32_e32 v9, 6, v0
	s_waitcnt vmcnt(1)
	ds_write_b32 v6, v10
	s_waitcnt vmcnt(0)
	ds_write_b32 v7, v11
	; wave barrier
	ds_read2_b32 v[2:3], v8 offset1:1
	v_or_b32_e32 v11, 63, v12
	s_waitcnt lgkmcnt(0)
	s_barrier
	v_add_u32_e32 v10, v3, v2
	s_nop 1
	v_mov_b32_dpp v12, v10 row_shr:1 row_mask:0xf bank_mask:0xf
	v_cndmask_b32_e32 v12, 0, v12, vcc
	v_add_u32_e32 v10, v12, v10
	v_cmp_lt_u32_e32 vcc, 1, v13
	s_nop 0
	v_mov_b32_dpp v12, v10 row_shr:2 row_mask:0xf bank_mask:0xf
	v_cndmask_b32_e32 v12, 0, v12, vcc
	v_add_u32_e32 v10, v10, v12
	v_cmp_lt_u32_e32 vcc, 3, v13
	;; [unrolled: 5-line block ×4, first 2 shown]
	s_nop 0
	v_mov_b32_dpp v12, v10 row_bcast:15 row_mask:0xf bank_mask:0xf
	v_and_b32_e32 v12, v14, v12
	v_add_u32_e32 v10, v10, v12
	s_nop 1
	v_mov_b32_dpp v12, v10 row_bcast:31 row_mask:0xf bank_mask:0xf
	v_cndmask_b32_e32 v12, 0, v12, vcc
	v_add_u32_e32 v10, v10, v12
	v_cmp_eq_u32_e32 vcc, v11, v0
	s_and_saveexec_b64 s[0:1], vcc
	s_cbranch_execz .LBB37_2
; %bb.1:
	v_lshlrev_b32_e32 v11, 2, v9
	ds_write_b32 v11, v10
.LBB37_2:
	s_or_b64 exec, exec, s[0:1]
	v_cmp_gt_u32_e32 vcc, 4, v0
	s_waitcnt lgkmcnt(0)
	s_barrier
	s_and_saveexec_b64 s[0:1], vcc
	s_cbranch_execz .LBB37_4
; %bb.3:
	v_lshlrev_b32_e32 v11, 2, v0
	ds_read_b32 v12, v11
	v_and_b32_e32 v13, 3, v5
	v_cmp_ne_u32_e32 vcc, 0, v13
	s_waitcnt lgkmcnt(0)
	v_mov_b32_dpp v14, v12 row_shr:1 row_mask:0xf bank_mask:0xf
	v_cndmask_b32_e32 v14, 0, v14, vcc
	v_add_u32_e32 v12, v14, v12
	v_cmp_lt_u32_e32 vcc, 1, v13
	s_nop 0
	v_mov_b32_dpp v14, v12 row_shr:2 row_mask:0xf bank_mask:0xf
	v_cndmask_b32_e32 v13, 0, v14, vcc
	v_add_u32_e32 v12, v12, v13
	ds_write_b32 v11, v12
.LBB37_4:
	s_or_b64 exec, exec, s[0:1]
	v_cmp_lt_u32_e32 vcc, 63, v0
	s_waitcnt lgkmcnt(0)
	s_barrier
	s_waitcnt lgkmcnt(0)
                                        ; implicit-def: $vgpr11
	s_and_saveexec_b64 s[0:1], vcc
	s_cbranch_execz .LBB37_6
; %bb.5:
	v_lshl_add_u32 v9, v9, 2, -4
	ds_read_b32 v11, v9
	s_waitcnt lgkmcnt(0)
	v_add_u32_e32 v10, v11, v10
.LBB37_6:
	s_or_b64 exec, exec, s[0:1]
	v_add_u32_e32 v9, -1, v5
	v_and_b32_e32 v12, 64, v5
	v_cmp_lt_i32_e32 vcc, v9, v12
	v_cndmask_b32_e32 v9, v9, v5, vcc
	v_lshlrev_b32_e32 v9, 2, v9
	ds_bpermute_b32 v9, v9, v10
	v_cmp_eq_u32_e32 vcc, 0, v5
	s_add_u32 s0, s2, s4
	s_waitcnt lgkmcnt(0)
	s_barrier
	v_cndmask_b32_e32 v5, v9, v11, vcc
	v_cmp_ne_u32_e32 vcc, 0, v0
	v_cndmask_b32_e32 v0, 0, v5, vcc
	v_add_u32_e32 v0, v0, v2
	v_add_u32_e32 v2, v0, v3
	s_addc_u32 s1, s3, s5
	ds_write2_b32 v8, v0, v2 offset1:1
	; wave barrier
	ds_read_b32 v2, v6
	ds_read_b32 v3, v7
	v_mov_b32_e32 v0, s1
	v_add_co_u32_e32 v1, vcc, s0, v1
	v_addc_co_u32_e32 v5, vcc, 0, v0, vcc
	v_add_co_u32_e32 v0, vcc, v1, v4
	v_addc_co_u32_e32 v1, vcc, 0, v5, vcc
	s_waitcnt lgkmcnt(1)
	global_store_dword v[0:1], v2, off
	s_waitcnt lgkmcnt(0)
	global_store_dword v[0:1], v3, off offset:256
	s_endpgm
	.section	.rodata,"a",@progbits
	.p2align	6, 0x0
	.amdhsa_kernel _Z16operation_kernelIiLj256ELj2EL23memory_operation_method4E9operationIL16kernel_operation1EiLj2ELj256EEEvPT_S5_T3_
		.amdhsa_group_segment_fixed_size 2112
		.amdhsa_private_segment_fixed_size 0
		.amdhsa_kernarg_size 20
		.amdhsa_user_sgpr_count 6
		.amdhsa_user_sgpr_private_segment_buffer 1
		.amdhsa_user_sgpr_dispatch_ptr 0
		.amdhsa_user_sgpr_queue_ptr 0
		.amdhsa_user_sgpr_kernarg_segment_ptr 1
		.amdhsa_user_sgpr_dispatch_id 0
		.amdhsa_user_sgpr_flat_scratch_init 0
		.amdhsa_user_sgpr_kernarg_preload_length 0
		.amdhsa_user_sgpr_kernarg_preload_offset 0
		.amdhsa_user_sgpr_private_segment_size 0
		.amdhsa_uses_dynamic_stack 0
		.amdhsa_system_sgpr_private_segment_wavefront_offset 0
		.amdhsa_system_sgpr_workgroup_id_x 1
		.amdhsa_system_sgpr_workgroup_id_y 0
		.amdhsa_system_sgpr_workgroup_id_z 0
		.amdhsa_system_sgpr_workgroup_info 0
		.amdhsa_system_vgpr_workitem_id 0
		.amdhsa_next_free_vgpr 16
		.amdhsa_next_free_sgpr 7
		.amdhsa_accum_offset 16
		.amdhsa_reserve_vcc 1
		.amdhsa_reserve_flat_scratch 0
		.amdhsa_float_round_mode_32 0
		.amdhsa_float_round_mode_16_64 0
		.amdhsa_float_denorm_mode_32 3
		.amdhsa_float_denorm_mode_16_64 3
		.amdhsa_dx10_clamp 1
		.amdhsa_ieee_mode 1
		.amdhsa_fp16_overflow 0
		.amdhsa_tg_split 0
		.amdhsa_exception_fp_ieee_invalid_op 0
		.amdhsa_exception_fp_denorm_src 0
		.amdhsa_exception_fp_ieee_div_zero 0
		.amdhsa_exception_fp_ieee_overflow 0
		.amdhsa_exception_fp_ieee_underflow 0
		.amdhsa_exception_fp_ieee_inexact 0
		.amdhsa_exception_int_div_zero 0
	.end_amdhsa_kernel
	.section	.text._Z16operation_kernelIiLj256ELj2EL23memory_operation_method4E9operationIL16kernel_operation1EiLj2ELj256EEEvPT_S5_T3_,"axG",@progbits,_Z16operation_kernelIiLj256ELj2EL23memory_operation_method4E9operationIL16kernel_operation1EiLj2ELj256EEEvPT_S5_T3_,comdat
.Lfunc_end37:
	.size	_Z16operation_kernelIiLj256ELj2EL23memory_operation_method4E9operationIL16kernel_operation1EiLj2ELj256EEEvPT_S5_T3_, .Lfunc_end37-_Z16operation_kernelIiLj256ELj2EL23memory_operation_method4E9operationIL16kernel_operation1EiLj2ELj256EEEvPT_S5_T3_
                                        ; -- End function
	.section	.AMDGPU.csdata,"",@progbits
; Kernel info:
; codeLenInByte = 688
; NumSgprs: 11
; NumVgprs: 16
; NumAgprs: 0
; TotalNumVgprs: 16
; ScratchSize: 0
; MemoryBound: 0
; FloatMode: 240
; IeeeMode: 1
; LDSByteSize: 2112 bytes/workgroup (compile time only)
; SGPRBlocks: 1
; VGPRBlocks: 1
; NumSGPRsForWavesPerEU: 11
; NumVGPRsForWavesPerEU: 16
; AccumOffset: 16
; Occupancy: 8
; WaveLimiterHint : 1
; COMPUTE_PGM_RSRC2:SCRATCH_EN: 0
; COMPUTE_PGM_RSRC2:USER_SGPR: 6
; COMPUTE_PGM_RSRC2:TRAP_HANDLER: 0
; COMPUTE_PGM_RSRC2:TGID_X_EN: 1
; COMPUTE_PGM_RSRC2:TGID_Y_EN: 0
; COMPUTE_PGM_RSRC2:TGID_Z_EN: 0
; COMPUTE_PGM_RSRC2:TIDIG_COMP_CNT: 0
; COMPUTE_PGM_RSRC3_GFX90A:ACCUM_OFFSET: 3
; COMPUTE_PGM_RSRC3_GFX90A:TG_SPLIT: 0
	.section	.text._Z16operation_kernelIiLj256ELj4EL23memory_operation_method4E9operationIL16kernel_operation1EiLj4ELj256EEEvPT_S5_T3_,"axG",@progbits,_Z16operation_kernelIiLj256ELj4EL23memory_operation_method4E9operationIL16kernel_operation1EiLj4ELj256EEEvPT_S5_T3_,comdat
	.protected	_Z16operation_kernelIiLj256ELj4EL23memory_operation_method4E9operationIL16kernel_operation1EiLj4ELj256EEEvPT_S5_T3_ ; -- Begin function _Z16operation_kernelIiLj256ELj4EL23memory_operation_method4E9operationIL16kernel_operation1EiLj4ELj256EEEvPT_S5_T3_
	.globl	_Z16operation_kernelIiLj256ELj4EL23memory_operation_method4E9operationIL16kernel_operation1EiLj4ELj256EEEvPT_S5_T3_
	.p2align	8
	.type	_Z16operation_kernelIiLj256ELj4EL23memory_operation_method4E9operationIL16kernel_operation1EiLj4ELj256EEEvPT_S5_T3_,@function
_Z16operation_kernelIiLj256ELj4EL23memory_operation_method4E9operationIL16kernel_operation1EiLj4ELj256EEEvPT_S5_T3_: ; @_Z16operation_kernelIiLj256ELj4EL23memory_operation_method4E9operationIL16kernel_operation1EiLj4ELj256EEEvPT_S5_T3_
; %bb.0:
	s_load_dwordx4 s[0:3], s[4:5], 0x0
	s_lshl_b32 s4, s6, 10
	s_mov_b32 s5, 0
	s_lshl_b64 s[4:5], s[4:5], 2
	v_mbcnt_lo_u32_b32 v1, -1, 0
	s_waitcnt lgkmcnt(0)
	s_add_u32 s0, s0, s4
	v_mbcnt_hi_u32_b32 v7, -1, v1
	s_addc_u32 s1, s1, s5
	v_lshlrev_b32_e32 v8, 2, v0
	v_lshlrev_b32_e32 v1, 2, v7
	v_and_b32_e32 v4, 0x300, v8
	v_mov_b32_e32 v2, s1
	v_add_co_u32_e32 v3, vcc, s0, v1
	v_addc_co_u32_e32 v5, vcc, 0, v2, vcc
	v_lshlrev_b32_e32 v6, 2, v4
	v_add_co_u32_e32 v2, vcc, v3, v6
	v_addc_co_u32_e32 v3, vcc, 0, v5, vcc
	global_load_dword v5, v[2:3], off
	global_load_dword v15, v[2:3], off offset:256
	global_load_dword v16, v[2:3], off offset:512
	;; [unrolled: 1-line block ×3, first 2 shown]
	v_and_b32_e32 v2, 0xc0, v0
	v_add_u32_e32 v3, v7, v2
	v_or_b32_e32 v20, 63, v2
	v_or_b32_e32 v2, v7, v4
	v_lshlrev_b32_e32 v4, 2, v3
	v_bfe_u32 v3, v3, 3, 27
	v_lshrrev_b32_e32 v9, 5, v2
	v_add_u32_e32 v10, 64, v2
	v_or_b32_e32 v11, 0x80, v2
	v_add_u32_e32 v12, 0xc0, v2
	v_add_lshl_u32 v13, v3, v4, 2
	v_add_lshl_u32 v9, v9, v2, 2
	v_lshrrev_b32_e32 v2, 5, v10
	v_lshrrev_b32_e32 v3, 5, v11
	;; [unrolled: 1-line block ×3, first 2 shown]
	v_add_lshl_u32 v10, v2, v10, 2
	v_add_lshl_u32 v11, v3, v11, 2
	;; [unrolled: 1-line block ×3, first 2 shown]
	v_and_b32_e32 v18, 15, v7
	v_cmp_ne_u32_e32 vcc, 0, v18
	v_bfe_i32 v19, v7, 4, 1
	v_lshrrev_b32_e32 v14, 6, v0
	s_waitcnt vmcnt(3)
	ds_write_b32 v9, v5
	s_waitcnt vmcnt(2)
	ds_write_b32 v10, v15
	;; [unrolled: 2-line block ×4, first 2 shown]
	; wave barrier
	ds_read2_b32 v[4:5], v13 offset1:1
	ds_read2_b32 v[2:3], v13 offset0:2 offset1:3
	s_waitcnt lgkmcnt(0)
	s_barrier
	v_add_u32_e32 v15, v5, v4
	v_add3_u32 v15, v15, v2, v3
	s_nop 1
	v_mov_b32_dpp v16, v15 row_shr:1 row_mask:0xf bank_mask:0xf
	v_cndmask_b32_e32 v16, 0, v16, vcc
	v_add_u32_e32 v15, v16, v15
	v_cmp_lt_u32_e32 vcc, 1, v18
	s_nop 0
	v_mov_b32_dpp v16, v15 row_shr:2 row_mask:0xf bank_mask:0xf
	v_cndmask_b32_e32 v16, 0, v16, vcc
	v_add_u32_e32 v15, v15, v16
	v_cmp_lt_u32_e32 vcc, 3, v18
	;; [unrolled: 5-line block ×4, first 2 shown]
	s_nop 0
	v_mov_b32_dpp v16, v15 row_bcast:15 row_mask:0xf bank_mask:0xf
	v_and_b32_e32 v16, v19, v16
	v_add_u32_e32 v15, v15, v16
	s_nop 1
	v_mov_b32_dpp v16, v15 row_bcast:31 row_mask:0xf bank_mask:0xf
	v_cndmask_b32_e32 v16, 0, v16, vcc
	v_add_u32_e32 v15, v15, v16
	v_cmp_eq_u32_e32 vcc, v20, v0
	s_and_saveexec_b64 s[0:1], vcc
	s_cbranch_execz .LBB38_2
; %bb.1:
	v_lshlrev_b32_e32 v16, 2, v14
	ds_write_b32 v16, v15
.LBB38_2:
	s_or_b64 exec, exec, s[0:1]
	v_cmp_gt_u32_e32 vcc, 4, v0
	s_waitcnt lgkmcnt(0)
	s_barrier
	s_and_saveexec_b64 s[0:1], vcc
	s_cbranch_execz .LBB38_4
; %bb.3:
	ds_read_b32 v16, v8
	v_and_b32_e32 v17, 3, v7
	v_cmp_ne_u32_e32 vcc, 0, v17
	s_waitcnt lgkmcnt(0)
	v_mov_b32_dpp v18, v16 row_shr:1 row_mask:0xf bank_mask:0xf
	v_cndmask_b32_e32 v18, 0, v18, vcc
	v_add_u32_e32 v16, v18, v16
	v_cmp_lt_u32_e32 vcc, 1, v17
	s_nop 0
	v_mov_b32_dpp v18, v16 row_shr:2 row_mask:0xf bank_mask:0xf
	v_cndmask_b32_e32 v17, 0, v18, vcc
	v_add_u32_e32 v16, v16, v17
	ds_write_b32 v8, v16
.LBB38_4:
	s_or_b64 exec, exec, s[0:1]
	v_cmp_lt_u32_e32 vcc, 63, v0
	s_waitcnt lgkmcnt(0)
	s_barrier
	s_waitcnt lgkmcnt(0)
                                        ; implicit-def: $vgpr8
	s_and_saveexec_b64 s[0:1], vcc
	s_cbranch_execz .LBB38_6
; %bb.5:
	v_lshl_add_u32 v8, v14, 2, -4
	ds_read_b32 v8, v8
	s_waitcnt lgkmcnt(0)
	v_add_u32_e32 v15, v8, v15
.LBB38_6:
	s_or_b64 exec, exec, s[0:1]
	v_add_u32_e32 v14, -1, v7
	v_and_b32_e32 v16, 64, v7
	v_cmp_lt_i32_e32 vcc, v14, v16
	v_cndmask_b32_e32 v14, v14, v7, vcc
	v_lshlrev_b32_e32 v14, 2, v14
	ds_bpermute_b32 v14, v14, v15
	v_cmp_eq_u32_e32 vcc, 0, v7
	s_add_u32 s0, s2, s4
	s_waitcnt lgkmcnt(0)
	s_barrier
	v_cndmask_b32_e32 v7, v14, v8, vcc
	v_cmp_ne_u32_e32 vcc, 0, v0
	v_cndmask_b32_e32 v0, 0, v7, vcc
	v_add_u32_e32 v0, v0, v4
	v_add_u32_e32 v4, v0, v5
	;; [unrolled: 1-line block ×4, first 2 shown]
	s_addc_u32 s1, s3, s5
	ds_write2_b32 v13, v0, v4 offset1:1
	ds_write2_b32 v13, v2, v3 offset0:2 offset1:3
	; wave barrier
	ds_read_b32 v2, v9
	ds_read_b32 v3, v10
	ds_read_b32 v4, v11
	ds_read_b32 v5, v12
	v_mov_b32_e32 v0, s1
	v_add_co_u32_e32 v1, vcc, s0, v1
	v_addc_co_u32_e32 v7, vcc, 0, v0, vcc
	v_add_co_u32_e32 v0, vcc, v1, v6
	v_addc_co_u32_e32 v1, vcc, 0, v7, vcc
	s_waitcnt lgkmcnt(3)
	global_store_dword v[0:1], v2, off
	s_waitcnt lgkmcnt(2)
	global_store_dword v[0:1], v3, off offset:256
	s_waitcnt lgkmcnt(1)
	global_store_dword v[0:1], v4, off offset:512
	;; [unrolled: 2-line block ×3, first 2 shown]
	s_endpgm
	.section	.rodata,"a",@progbits
	.p2align	6, 0x0
	.amdhsa_kernel _Z16operation_kernelIiLj256ELj4EL23memory_operation_method4E9operationIL16kernel_operation1EiLj4ELj256EEEvPT_S5_T3_
		.amdhsa_group_segment_fixed_size 4224
		.amdhsa_private_segment_fixed_size 0
		.amdhsa_kernarg_size 20
		.amdhsa_user_sgpr_count 6
		.amdhsa_user_sgpr_private_segment_buffer 1
		.amdhsa_user_sgpr_dispatch_ptr 0
		.amdhsa_user_sgpr_queue_ptr 0
		.amdhsa_user_sgpr_kernarg_segment_ptr 1
		.amdhsa_user_sgpr_dispatch_id 0
		.amdhsa_user_sgpr_flat_scratch_init 0
		.amdhsa_user_sgpr_kernarg_preload_length 0
		.amdhsa_user_sgpr_kernarg_preload_offset 0
		.amdhsa_user_sgpr_private_segment_size 0
		.amdhsa_uses_dynamic_stack 0
		.amdhsa_system_sgpr_private_segment_wavefront_offset 0
		.amdhsa_system_sgpr_workgroup_id_x 1
		.amdhsa_system_sgpr_workgroup_id_y 0
		.amdhsa_system_sgpr_workgroup_id_z 0
		.amdhsa_system_sgpr_workgroup_info 0
		.amdhsa_system_vgpr_workitem_id 0
		.amdhsa_next_free_vgpr 21
		.amdhsa_next_free_sgpr 7
		.amdhsa_accum_offset 24
		.amdhsa_reserve_vcc 1
		.amdhsa_reserve_flat_scratch 0
		.amdhsa_float_round_mode_32 0
		.amdhsa_float_round_mode_16_64 0
		.amdhsa_float_denorm_mode_32 3
		.amdhsa_float_denorm_mode_16_64 3
		.amdhsa_dx10_clamp 1
		.amdhsa_ieee_mode 1
		.amdhsa_fp16_overflow 0
		.amdhsa_tg_split 0
		.amdhsa_exception_fp_ieee_invalid_op 0
		.amdhsa_exception_fp_denorm_src 0
		.amdhsa_exception_fp_ieee_div_zero 0
		.amdhsa_exception_fp_ieee_overflow 0
		.amdhsa_exception_fp_ieee_underflow 0
		.amdhsa_exception_fp_ieee_inexact 0
		.amdhsa_exception_int_div_zero 0
	.end_amdhsa_kernel
	.section	.text._Z16operation_kernelIiLj256ELj4EL23memory_operation_method4E9operationIL16kernel_operation1EiLj4ELj256EEEvPT_S5_T3_,"axG",@progbits,_Z16operation_kernelIiLj256ELj4EL23memory_operation_method4E9operationIL16kernel_operation1EiLj4ELj256EEEvPT_S5_T3_,comdat
.Lfunc_end38:
	.size	_Z16operation_kernelIiLj256ELj4EL23memory_operation_method4E9operationIL16kernel_operation1EiLj4ELj256EEEvPT_S5_T3_, .Lfunc_end38-_Z16operation_kernelIiLj256ELj4EL23memory_operation_method4E9operationIL16kernel_operation1EiLj4ELj256EEEvPT_S5_T3_
                                        ; -- End function
	.section	.AMDGPU.csdata,"",@progbits
; Kernel info:
; codeLenInByte = 836
; NumSgprs: 11
; NumVgprs: 21
; NumAgprs: 0
; TotalNumVgprs: 21
; ScratchSize: 0
; MemoryBound: 0
; FloatMode: 240
; IeeeMode: 1
; LDSByteSize: 4224 bytes/workgroup (compile time only)
; SGPRBlocks: 1
; VGPRBlocks: 2
; NumSGPRsForWavesPerEU: 11
; NumVGPRsForWavesPerEU: 21
; AccumOffset: 24
; Occupancy: 8
; WaveLimiterHint : 1
; COMPUTE_PGM_RSRC2:SCRATCH_EN: 0
; COMPUTE_PGM_RSRC2:USER_SGPR: 6
; COMPUTE_PGM_RSRC2:TRAP_HANDLER: 0
; COMPUTE_PGM_RSRC2:TGID_X_EN: 1
; COMPUTE_PGM_RSRC2:TGID_Y_EN: 0
; COMPUTE_PGM_RSRC2:TGID_Z_EN: 0
; COMPUTE_PGM_RSRC2:TIDIG_COMP_CNT: 0
; COMPUTE_PGM_RSRC3_GFX90A:ACCUM_OFFSET: 5
; COMPUTE_PGM_RSRC3_GFX90A:TG_SPLIT: 0
	.section	.text._Z16operation_kernelIiLj256ELj8EL23memory_operation_method4E9operationIL16kernel_operation1EiLj8ELj256EEEvPT_S5_T3_,"axG",@progbits,_Z16operation_kernelIiLj256ELj8EL23memory_operation_method4E9operationIL16kernel_operation1EiLj8ELj256EEEvPT_S5_T3_,comdat
	.protected	_Z16operation_kernelIiLj256ELj8EL23memory_operation_method4E9operationIL16kernel_operation1EiLj8ELj256EEEvPT_S5_T3_ ; -- Begin function _Z16operation_kernelIiLj256ELj8EL23memory_operation_method4E9operationIL16kernel_operation1EiLj8ELj256EEEvPT_S5_T3_
	.globl	_Z16operation_kernelIiLj256ELj8EL23memory_operation_method4E9operationIL16kernel_operation1EiLj8ELj256EEEvPT_S5_T3_
	.p2align	8
	.type	_Z16operation_kernelIiLj256ELj8EL23memory_operation_method4E9operationIL16kernel_operation1EiLj8ELj256EEEvPT_S5_T3_,@function
_Z16operation_kernelIiLj256ELj8EL23memory_operation_method4E9operationIL16kernel_operation1EiLj8ELj256EEEvPT_S5_T3_: ; @_Z16operation_kernelIiLj256ELj8EL23memory_operation_method4E9operationIL16kernel_operation1EiLj8ELj256EEEvPT_S5_T3_
; %bb.0:
	s_load_dwordx4 s[0:3], s[4:5], 0x0
	s_lshl_b32 s4, s6, 11
	s_mov_b32 s5, 0
	s_lshl_b64 s[4:5], s[4:5], 2
	v_mbcnt_lo_u32_b32 v1, -1, 0
	s_waitcnt lgkmcnt(0)
	s_add_u32 s0, s0, s4
	v_mbcnt_hi_u32_b32 v11, -1, v1
	v_lshlrev_b32_e32 v1, 3, v0
	s_addc_u32 s1, s1, s5
	v_and_b32_e32 v4, 0x600, v1
	v_lshlrev_b32_e32 v1, 2, v11
	v_mov_b32_e32 v2, s1
	v_add_co_u32_e32 v3, vcc, s0, v1
	v_addc_co_u32_e32 v5, vcc, 0, v2, vcc
	v_lshlrev_b32_e32 v10, 2, v4
	v_add_co_u32_e32 v2, vcc, v3, v10
	v_addc_co_u32_e32 v3, vcc, 0, v5, vcc
	global_load_dword v5, v[2:3], off
	global_load_dword v6, v[2:3], off offset:256
	global_load_dword v7, v[2:3], off offset:512
	;; [unrolled: 1-line block ×7, first 2 shown]
	v_and_b32_e32 v2, 0xc0, v0
	v_add_u32_e32 v3, v11, v2
	v_or_b32_e32 v27, 63, v2
	v_or_b32_e32 v2, v11, v4
	v_lshlrev_b32_e32 v4, 3, v3
	v_bfe_u32 v3, v3, 2, 27
	v_lshrrev_b32_e32 v12, 5, v2
	v_add_u32_e32 v14, 64, v2
	v_or_b32_e32 v15, 0x80, v2
	v_add_u32_e32 v16, 0xc0, v2
	v_or_b32_e32 v17, 0x100, v2
	;; [unrolled: 2-line block ×3, first 2 shown]
	v_add_u32_e32 v20, 0x1c0, v2
	v_add_lshl_u32 v13, v3, v4, 2
	v_add_lshl_u32 v12, v12, v2, 2
	v_lshrrev_b32_e32 v2, 5, v14
	v_lshrrev_b32_e32 v3, 5, v15
	v_lshrrev_b32_e32 v4, 5, v16
	v_lshrrev_b32_e32 v28, 5, v17
	v_lshrrev_b32_e32 v29, 5, v18
	v_lshrrev_b32_e32 v30, 5, v19
	v_lshrrev_b32_e32 v31, 5, v20
	v_add_lshl_u32 v14, v2, v14, 2
	v_add_lshl_u32 v15, v3, v15, 2
	;; [unrolled: 1-line block ×7, first 2 shown]
	v_and_b32_e32 v25, 15, v11
	v_cmp_ne_u32_e32 vcc, 0, v25
	v_bfe_i32 v26, v11, 4, 1
	v_lshrrev_b32_e32 v21, 6, v0
	s_waitcnt vmcnt(7)
	ds_write_b32 v12, v5
	s_waitcnt vmcnt(6)
	ds_write_b32 v14, v6
	;; [unrolled: 2-line block ×8, first 2 shown]
	; wave barrier
	ds_read2_b32 v[8:9], v13 offset1:1
	ds_read2_b32 v[6:7], v13 offset0:2 offset1:3
	ds_read2_b32 v[4:5], v13 offset0:4 offset1:5
	;; [unrolled: 1-line block ×3, first 2 shown]
	s_waitcnt lgkmcnt(0)
	v_add_u32_e32 v22, v9, v8
	v_add3_u32 v22, v22, v6, v7
	v_add3_u32 v22, v22, v4, v5
	;; [unrolled: 1-line block ×3, first 2 shown]
	s_barrier
	s_nop 0
	v_mov_b32_dpp v23, v22 row_shr:1 row_mask:0xf bank_mask:0xf
	v_cndmask_b32_e32 v23, 0, v23, vcc
	v_add_u32_e32 v22, v23, v22
	v_cmp_lt_u32_e32 vcc, 1, v25
	s_nop 0
	v_mov_b32_dpp v23, v22 row_shr:2 row_mask:0xf bank_mask:0xf
	v_cndmask_b32_e32 v23, 0, v23, vcc
	v_add_u32_e32 v22, v22, v23
	v_cmp_lt_u32_e32 vcc, 3, v25
	;; [unrolled: 5-line block ×4, first 2 shown]
	s_nop 0
	v_mov_b32_dpp v23, v22 row_bcast:15 row_mask:0xf bank_mask:0xf
	v_and_b32_e32 v23, v26, v23
	v_add_u32_e32 v22, v22, v23
	s_nop 1
	v_mov_b32_dpp v23, v22 row_bcast:31 row_mask:0xf bank_mask:0xf
	v_cndmask_b32_e32 v23, 0, v23, vcc
	v_add_u32_e32 v22, v22, v23
	v_cmp_eq_u32_e32 vcc, v27, v0
	s_and_saveexec_b64 s[0:1], vcc
	s_cbranch_execz .LBB39_2
; %bb.1:
	v_lshlrev_b32_e32 v23, 2, v21
	ds_write_b32 v23, v22
.LBB39_2:
	s_or_b64 exec, exec, s[0:1]
	v_cmp_gt_u32_e32 vcc, 4, v0
	s_waitcnt lgkmcnt(0)
	s_barrier
	s_and_saveexec_b64 s[0:1], vcc
	s_cbranch_execz .LBB39_4
; %bb.3:
	v_lshlrev_b32_e32 v23, 2, v0
	ds_read_b32 v24, v23
	v_and_b32_e32 v25, 3, v11
	v_cmp_ne_u32_e32 vcc, 0, v25
	s_waitcnt lgkmcnt(0)
	v_mov_b32_dpp v26, v24 row_shr:1 row_mask:0xf bank_mask:0xf
	v_cndmask_b32_e32 v26, 0, v26, vcc
	v_add_u32_e32 v24, v26, v24
	v_cmp_lt_u32_e32 vcc, 1, v25
	s_nop 0
	v_mov_b32_dpp v26, v24 row_shr:2 row_mask:0xf bank_mask:0xf
	v_cndmask_b32_e32 v25, 0, v26, vcc
	v_add_u32_e32 v24, v24, v25
	ds_write_b32 v23, v24
.LBB39_4:
	s_or_b64 exec, exec, s[0:1]
	v_cmp_lt_u32_e32 vcc, 63, v0
	s_waitcnt lgkmcnt(0)
	s_barrier
	s_waitcnt lgkmcnt(0)
                                        ; implicit-def: $vgpr23
	s_and_saveexec_b64 s[0:1], vcc
	s_cbranch_execz .LBB39_6
; %bb.5:
	v_lshl_add_u32 v21, v21, 2, -4
	ds_read_b32 v23, v21
	s_waitcnt lgkmcnt(0)
	v_add_u32_e32 v22, v23, v22
.LBB39_6:
	s_or_b64 exec, exec, s[0:1]
	v_add_u32_e32 v21, -1, v11
	v_and_b32_e32 v24, 64, v11
	v_cmp_lt_i32_e32 vcc, v21, v24
	v_cndmask_b32_e32 v21, v21, v11, vcc
	v_lshlrev_b32_e32 v21, 2, v21
	ds_bpermute_b32 v21, v21, v22
	v_cmp_eq_u32_e32 vcc, 0, v11
	s_add_u32 s0, s2, s4
	s_waitcnt lgkmcnt(0)
	s_barrier
	v_cndmask_b32_e32 v11, v21, v23, vcc
	v_cmp_ne_u32_e32 vcc, 0, v0
	v_cndmask_b32_e32 v0, 0, v11, vcc
	v_add_u32_e32 v0, v0, v8
	v_add_u32_e32 v8, v0, v9
	v_add_u32_e32 v6, v8, v6
	v_add_u32_e32 v7, v6, v7
	v_add_u32_e32 v4, v7, v4
	v_add_u32_e32 v5, v4, v5
	v_add_u32_e32 v2, v5, v2
	v_add_u32_e32 v3, v2, v3
	s_addc_u32 s1, s3, s5
	ds_write2_b32 v13, v0, v8 offset1:1
	ds_write2_b32 v13, v6, v7 offset0:2 offset1:3
	ds_write2_b32 v13, v4, v5 offset0:4 offset1:5
	;; [unrolled: 1-line block ×3, first 2 shown]
	; wave barrier
	ds_read_b32 v2, v12
	ds_read_b32 v3, v14
	;; [unrolled: 1-line block ×8, first 2 shown]
	v_mov_b32_e32 v0, s1
	v_add_co_u32_e32 v1, vcc, s0, v1
	v_addc_co_u32_e32 v11, vcc, 0, v0, vcc
	v_add_co_u32_e32 v0, vcc, v1, v10
	v_addc_co_u32_e32 v1, vcc, 0, v11, vcc
	s_waitcnt lgkmcnt(7)
	global_store_dword v[0:1], v2, off
	s_waitcnt lgkmcnt(6)
	global_store_dword v[0:1], v3, off offset:256
	s_waitcnt lgkmcnt(5)
	global_store_dword v[0:1], v4, off offset:512
	;; [unrolled: 2-line block ×7, first 2 shown]
	s_endpgm
	.section	.rodata,"a",@progbits
	.p2align	6, 0x0
	.amdhsa_kernel _Z16operation_kernelIiLj256ELj8EL23memory_operation_method4E9operationIL16kernel_operation1EiLj8ELj256EEEvPT_S5_T3_
		.amdhsa_group_segment_fixed_size 8448
		.amdhsa_private_segment_fixed_size 0
		.amdhsa_kernarg_size 20
		.amdhsa_user_sgpr_count 6
		.amdhsa_user_sgpr_private_segment_buffer 1
		.amdhsa_user_sgpr_dispatch_ptr 0
		.amdhsa_user_sgpr_queue_ptr 0
		.amdhsa_user_sgpr_kernarg_segment_ptr 1
		.amdhsa_user_sgpr_dispatch_id 0
		.amdhsa_user_sgpr_flat_scratch_init 0
		.amdhsa_user_sgpr_kernarg_preload_length 0
		.amdhsa_user_sgpr_kernarg_preload_offset 0
		.amdhsa_user_sgpr_private_segment_size 0
		.amdhsa_uses_dynamic_stack 0
		.amdhsa_system_sgpr_private_segment_wavefront_offset 0
		.amdhsa_system_sgpr_workgroup_id_x 1
		.amdhsa_system_sgpr_workgroup_id_y 0
		.amdhsa_system_sgpr_workgroup_id_z 0
		.amdhsa_system_sgpr_workgroup_info 0
		.amdhsa_system_vgpr_workitem_id 0
		.amdhsa_next_free_vgpr 32
		.amdhsa_next_free_sgpr 7
		.amdhsa_accum_offset 32
		.amdhsa_reserve_vcc 1
		.amdhsa_reserve_flat_scratch 0
		.amdhsa_float_round_mode_32 0
		.amdhsa_float_round_mode_16_64 0
		.amdhsa_float_denorm_mode_32 3
		.amdhsa_float_denorm_mode_16_64 3
		.amdhsa_dx10_clamp 1
		.amdhsa_ieee_mode 1
		.amdhsa_fp16_overflow 0
		.amdhsa_tg_split 0
		.amdhsa_exception_fp_ieee_invalid_op 0
		.amdhsa_exception_fp_denorm_src 0
		.amdhsa_exception_fp_ieee_div_zero 0
		.amdhsa_exception_fp_ieee_overflow 0
		.amdhsa_exception_fp_ieee_underflow 0
		.amdhsa_exception_fp_ieee_inexact 0
		.amdhsa_exception_int_div_zero 0
	.end_amdhsa_kernel
	.section	.text._Z16operation_kernelIiLj256ELj8EL23memory_operation_method4E9operationIL16kernel_operation1EiLj8ELj256EEEvPT_S5_T3_,"axG",@progbits,_Z16operation_kernelIiLj256ELj8EL23memory_operation_method4E9operationIL16kernel_operation1EiLj8ELj256EEEvPT_S5_T3_,comdat
.Lfunc_end39:
	.size	_Z16operation_kernelIiLj256ELj8EL23memory_operation_method4E9operationIL16kernel_operation1EiLj8ELj256EEEvPT_S5_T3_, .Lfunc_end39-_Z16operation_kernelIiLj256ELj8EL23memory_operation_method4E9operationIL16kernel_operation1EiLj8ELj256EEEvPT_S5_T3_
                                        ; -- End function
	.section	.AMDGPU.csdata,"",@progbits
; Kernel info:
; codeLenInByte = 1144
; NumSgprs: 11
; NumVgprs: 32
; NumAgprs: 0
; TotalNumVgprs: 32
; ScratchSize: 0
; MemoryBound: 0
; FloatMode: 240
; IeeeMode: 1
; LDSByteSize: 8448 bytes/workgroup (compile time only)
; SGPRBlocks: 1
; VGPRBlocks: 3
; NumSGPRsForWavesPerEU: 11
; NumVGPRsForWavesPerEU: 32
; AccumOffset: 32
; Occupancy: 7
; WaveLimiterHint : 1
; COMPUTE_PGM_RSRC2:SCRATCH_EN: 0
; COMPUTE_PGM_RSRC2:USER_SGPR: 6
; COMPUTE_PGM_RSRC2:TRAP_HANDLER: 0
; COMPUTE_PGM_RSRC2:TGID_X_EN: 1
; COMPUTE_PGM_RSRC2:TGID_Y_EN: 0
; COMPUTE_PGM_RSRC2:TGID_Z_EN: 0
; COMPUTE_PGM_RSRC2:TIDIG_COMP_CNT: 0
; COMPUTE_PGM_RSRC3_GFX90A:ACCUM_OFFSET: 7
; COMPUTE_PGM_RSRC3_GFX90A:TG_SPLIT: 0
	.section	.text._Z16operation_kernelIiLj256ELj1EL23memory_operation_method0E9operationIL16kernel_operation2EiLj1ELj256EEEvPT_S5_T3_,"axG",@progbits,_Z16operation_kernelIiLj256ELj1EL23memory_operation_method0E9operationIL16kernel_operation2EiLj1ELj256EEEvPT_S5_T3_,comdat
	.protected	_Z16operation_kernelIiLj256ELj1EL23memory_operation_method0E9operationIL16kernel_operation2EiLj1ELj256EEEvPT_S5_T3_ ; -- Begin function _Z16operation_kernelIiLj256ELj1EL23memory_operation_method0E9operationIL16kernel_operation2EiLj1ELj256EEEvPT_S5_T3_
	.globl	_Z16operation_kernelIiLj256ELj1EL23memory_operation_method0E9operationIL16kernel_operation2EiLj1ELj256EEEvPT_S5_T3_
	.p2align	8
	.type	_Z16operation_kernelIiLj256ELj1EL23memory_operation_method0E9operationIL16kernel_operation2EiLj1ELj256EEEvPT_S5_T3_,@function
_Z16operation_kernelIiLj256ELj1EL23memory_operation_method0E9operationIL16kernel_operation2EiLj1ELj256EEEvPT_S5_T3_: ; @_Z16operation_kernelIiLj256ELj1EL23memory_operation_method0E9operationIL16kernel_operation2EiLj1ELj256EEEvPT_S5_T3_
; %bb.0:
	s_load_dwordx4 s[0:3], s[4:5], 0x0
	s_lshl_b32 s4, s6, 8
	s_mov_b32 s5, 0
	s_lshl_b64 s[4:5], s[4:5], 2
	v_lshlrev_b32_e32 v0, 2, v0
	s_waitcnt lgkmcnt(0)
	s_add_u32 s0, s0, s4
	s_addc_u32 s1, s1, s5
	global_load_dword v1, v0, s[0:1]
	s_add_u32 s0, s2, s4
	s_addc_u32 s1, s3, s5
	s_barrier
	s_waitcnt vmcnt(0)
	v_add_u32_e32 v1, 0x29a, v1
	v_mul_lo_u32 v1, v1, v1
	v_mul_lo_u32 v1, v1, v1
	;; [unrolled: 1-line block ×30, first 2 shown]
	global_store_dword v0, v1, s[0:1]
	s_endpgm
	.section	.rodata,"a",@progbits
	.p2align	6, 0x0
	.amdhsa_kernel _Z16operation_kernelIiLj256ELj1EL23memory_operation_method0E9operationIL16kernel_operation2EiLj1ELj256EEEvPT_S5_T3_
		.amdhsa_group_segment_fixed_size 0
		.amdhsa_private_segment_fixed_size 0
		.amdhsa_kernarg_size 20
		.amdhsa_user_sgpr_count 6
		.amdhsa_user_sgpr_private_segment_buffer 1
		.amdhsa_user_sgpr_dispatch_ptr 0
		.amdhsa_user_sgpr_queue_ptr 0
		.amdhsa_user_sgpr_kernarg_segment_ptr 1
		.amdhsa_user_sgpr_dispatch_id 0
		.amdhsa_user_sgpr_flat_scratch_init 0
		.amdhsa_user_sgpr_kernarg_preload_length 0
		.amdhsa_user_sgpr_kernarg_preload_offset 0
		.amdhsa_user_sgpr_private_segment_size 0
		.amdhsa_uses_dynamic_stack 0
		.amdhsa_system_sgpr_private_segment_wavefront_offset 0
		.amdhsa_system_sgpr_workgroup_id_x 1
		.amdhsa_system_sgpr_workgroup_id_y 0
		.amdhsa_system_sgpr_workgroup_id_z 0
		.amdhsa_system_sgpr_workgroup_info 0
		.amdhsa_system_vgpr_workitem_id 0
		.amdhsa_next_free_vgpr 2
		.amdhsa_next_free_sgpr 7
		.amdhsa_accum_offset 4
		.amdhsa_reserve_vcc 0
		.amdhsa_reserve_flat_scratch 0
		.amdhsa_float_round_mode_32 0
		.amdhsa_float_round_mode_16_64 0
		.amdhsa_float_denorm_mode_32 3
		.amdhsa_float_denorm_mode_16_64 3
		.amdhsa_dx10_clamp 1
		.amdhsa_ieee_mode 1
		.amdhsa_fp16_overflow 0
		.amdhsa_tg_split 0
		.amdhsa_exception_fp_ieee_invalid_op 0
		.amdhsa_exception_fp_denorm_src 0
		.amdhsa_exception_fp_ieee_div_zero 0
		.amdhsa_exception_fp_ieee_overflow 0
		.amdhsa_exception_fp_ieee_underflow 0
		.amdhsa_exception_fp_ieee_inexact 0
		.amdhsa_exception_int_div_zero 0
	.end_amdhsa_kernel
	.section	.text._Z16operation_kernelIiLj256ELj1EL23memory_operation_method0E9operationIL16kernel_operation2EiLj1ELj256EEEvPT_S5_T3_,"axG",@progbits,_Z16operation_kernelIiLj256ELj1EL23memory_operation_method0E9operationIL16kernel_operation2EiLj1ELj256EEEvPT_S5_T3_,comdat
.Lfunc_end40:
	.size	_Z16operation_kernelIiLj256ELj1EL23memory_operation_method0E9operationIL16kernel_operation2EiLj1ELj256EEEvPT_S5_T3_, .Lfunc_end40-_Z16operation_kernelIiLj256ELj1EL23memory_operation_method0E9operationIL16kernel_operation2EiLj1ELj256EEEvPT_S5_T3_
                                        ; -- End function
	.section	.AMDGPU.csdata,"",@progbits
; Kernel info:
; codeLenInByte = 320
; NumSgprs: 11
; NumVgprs: 2
; NumAgprs: 0
; TotalNumVgprs: 2
; ScratchSize: 0
; MemoryBound: 0
; FloatMode: 240
; IeeeMode: 1
; LDSByteSize: 0 bytes/workgroup (compile time only)
; SGPRBlocks: 1
; VGPRBlocks: 0
; NumSGPRsForWavesPerEU: 11
; NumVGPRsForWavesPerEU: 2
; AccumOffset: 4
; Occupancy: 8
; WaveLimiterHint : 0
; COMPUTE_PGM_RSRC2:SCRATCH_EN: 0
; COMPUTE_PGM_RSRC2:USER_SGPR: 6
; COMPUTE_PGM_RSRC2:TRAP_HANDLER: 0
; COMPUTE_PGM_RSRC2:TGID_X_EN: 1
; COMPUTE_PGM_RSRC2:TGID_Y_EN: 0
; COMPUTE_PGM_RSRC2:TGID_Z_EN: 0
; COMPUTE_PGM_RSRC2:TIDIG_COMP_CNT: 0
; COMPUTE_PGM_RSRC3_GFX90A:ACCUM_OFFSET: 0
; COMPUTE_PGM_RSRC3_GFX90A:TG_SPLIT: 0
	.section	.text._Z16operation_kernelIiLj256ELj2EL23memory_operation_method0E9operationIL16kernel_operation2EiLj2ELj256EEEvPT_S5_T3_,"axG",@progbits,_Z16operation_kernelIiLj256ELj2EL23memory_operation_method0E9operationIL16kernel_operation2EiLj2ELj256EEEvPT_S5_T3_,comdat
	.protected	_Z16operation_kernelIiLj256ELj2EL23memory_operation_method0E9operationIL16kernel_operation2EiLj2ELj256EEEvPT_S5_T3_ ; -- Begin function _Z16operation_kernelIiLj256ELj2EL23memory_operation_method0E9operationIL16kernel_operation2EiLj2ELj256EEEvPT_S5_T3_
	.globl	_Z16operation_kernelIiLj256ELj2EL23memory_operation_method0E9operationIL16kernel_operation2EiLj2ELj256EEEvPT_S5_T3_
	.p2align	8
	.type	_Z16operation_kernelIiLj256ELj2EL23memory_operation_method0E9operationIL16kernel_operation2EiLj2ELj256EEEvPT_S5_T3_,@function
_Z16operation_kernelIiLj256ELj2EL23memory_operation_method0E9operationIL16kernel_operation2EiLj2ELj256EEEvPT_S5_T3_: ; @_Z16operation_kernelIiLj256ELj2EL23memory_operation_method0E9operationIL16kernel_operation2EiLj2ELj256EEEvPT_S5_T3_
; %bb.0:
	s_load_dwordx4 s[0:3], s[4:5], 0x0
	s_lshl_b32 s4, s6, 9
	s_mov_b32 s5, 0
	s_lshl_b64 s[4:5], s[4:5], 2
	v_lshlrev_b32_e32 v2, 3, v0
	s_waitcnt lgkmcnt(0)
	s_add_u32 s0, s0, s4
	s_addc_u32 s1, s1, s5
	global_load_dwordx2 v[0:1], v2, s[0:1]
	s_add_u32 s0, s2, s4
	s_addc_u32 s1, s3, s5
	s_barrier
	s_waitcnt vmcnt(0)
	v_add_u32_e32 v0, 0x29a, v0
	v_mul_lo_u32 v0, v0, v0
	v_mul_lo_u32 v0, v0, v1
	;; [unrolled: 1-line block ×28, first 2 shown]
	v_add_u32_e32 v3, 0x29a, v1
	v_mul_lo_u32 v1, v0, v1
	v_mul_lo_u32 v0, v1, v0
	;; [unrolled: 1-line block ×32, first 2 shown]
	global_store_dwordx2 v2, v[0:1], s[0:1]
	s_endpgm
	.section	.rodata,"a",@progbits
	.p2align	6, 0x0
	.amdhsa_kernel _Z16operation_kernelIiLj256ELj2EL23memory_operation_method0E9operationIL16kernel_operation2EiLj2ELj256EEEvPT_S5_T3_
		.amdhsa_group_segment_fixed_size 0
		.amdhsa_private_segment_fixed_size 0
		.amdhsa_kernarg_size 20
		.amdhsa_user_sgpr_count 6
		.amdhsa_user_sgpr_private_segment_buffer 1
		.amdhsa_user_sgpr_dispatch_ptr 0
		.amdhsa_user_sgpr_queue_ptr 0
		.amdhsa_user_sgpr_kernarg_segment_ptr 1
		.amdhsa_user_sgpr_dispatch_id 0
		.amdhsa_user_sgpr_flat_scratch_init 0
		.amdhsa_user_sgpr_kernarg_preload_length 0
		.amdhsa_user_sgpr_kernarg_preload_offset 0
		.amdhsa_user_sgpr_private_segment_size 0
		.amdhsa_uses_dynamic_stack 0
		.amdhsa_system_sgpr_private_segment_wavefront_offset 0
		.amdhsa_system_sgpr_workgroup_id_x 1
		.amdhsa_system_sgpr_workgroup_id_y 0
		.amdhsa_system_sgpr_workgroup_id_z 0
		.amdhsa_system_sgpr_workgroup_info 0
		.amdhsa_system_vgpr_workitem_id 0
		.amdhsa_next_free_vgpr 5
		.amdhsa_next_free_sgpr 7
		.amdhsa_accum_offset 8
		.amdhsa_reserve_vcc 0
		.amdhsa_reserve_flat_scratch 0
		.amdhsa_float_round_mode_32 0
		.amdhsa_float_round_mode_16_64 0
		.amdhsa_float_denorm_mode_32 3
		.amdhsa_float_denorm_mode_16_64 3
		.amdhsa_dx10_clamp 1
		.amdhsa_ieee_mode 1
		.amdhsa_fp16_overflow 0
		.amdhsa_tg_split 0
		.amdhsa_exception_fp_ieee_invalid_op 0
		.amdhsa_exception_fp_denorm_src 0
		.amdhsa_exception_fp_ieee_div_zero 0
		.amdhsa_exception_fp_ieee_overflow 0
		.amdhsa_exception_fp_ieee_underflow 0
		.amdhsa_exception_fp_ieee_inexact 0
		.amdhsa_exception_int_div_zero 0
	.end_amdhsa_kernel
	.section	.text._Z16operation_kernelIiLj256ELj2EL23memory_operation_method0E9operationIL16kernel_operation2EiLj2ELj256EEEvPT_S5_T3_,"axG",@progbits,_Z16operation_kernelIiLj256ELj2EL23memory_operation_method0E9operationIL16kernel_operation2EiLj2ELj256EEEvPT_S5_T3_,comdat
.Lfunc_end41:
	.size	_Z16operation_kernelIiLj256ELj2EL23memory_operation_method0E9operationIL16kernel_operation2EiLj2ELj256EEEvPT_S5_T3_, .Lfunc_end41-_Z16operation_kernelIiLj256ELj2EL23memory_operation_method0E9operationIL16kernel_operation2EiLj2ELj256EEEvPT_S5_T3_
                                        ; -- End function
	.section	.AMDGPU.csdata,"",@progbits
; Kernel info:
; codeLenInByte = 568
; NumSgprs: 11
; NumVgprs: 5
; NumAgprs: 0
; TotalNumVgprs: 5
; ScratchSize: 0
; MemoryBound: 0
; FloatMode: 240
; IeeeMode: 1
; LDSByteSize: 0 bytes/workgroup (compile time only)
; SGPRBlocks: 1
; VGPRBlocks: 0
; NumSGPRsForWavesPerEU: 11
; NumVGPRsForWavesPerEU: 5
; AccumOffset: 8
; Occupancy: 8
; WaveLimiterHint : 0
; COMPUTE_PGM_RSRC2:SCRATCH_EN: 0
; COMPUTE_PGM_RSRC2:USER_SGPR: 6
; COMPUTE_PGM_RSRC2:TRAP_HANDLER: 0
; COMPUTE_PGM_RSRC2:TGID_X_EN: 1
; COMPUTE_PGM_RSRC2:TGID_Y_EN: 0
; COMPUTE_PGM_RSRC2:TGID_Z_EN: 0
; COMPUTE_PGM_RSRC2:TIDIG_COMP_CNT: 0
; COMPUTE_PGM_RSRC3_GFX90A:ACCUM_OFFSET: 1
; COMPUTE_PGM_RSRC3_GFX90A:TG_SPLIT: 0
	.section	.text._Z16operation_kernelIiLj256ELj4EL23memory_operation_method0E9operationIL16kernel_operation2EiLj4ELj256EEEvPT_S5_T3_,"axG",@progbits,_Z16operation_kernelIiLj256ELj4EL23memory_operation_method0E9operationIL16kernel_operation2EiLj4ELj256EEEvPT_S5_T3_,comdat
	.protected	_Z16operation_kernelIiLj256ELj4EL23memory_operation_method0E9operationIL16kernel_operation2EiLj4ELj256EEEvPT_S5_T3_ ; -- Begin function _Z16operation_kernelIiLj256ELj4EL23memory_operation_method0E9operationIL16kernel_operation2EiLj4ELj256EEEvPT_S5_T3_
	.globl	_Z16operation_kernelIiLj256ELj4EL23memory_operation_method0E9operationIL16kernel_operation2EiLj4ELj256EEEvPT_S5_T3_
	.p2align	8
	.type	_Z16operation_kernelIiLj256ELj4EL23memory_operation_method0E9operationIL16kernel_operation2EiLj4ELj256EEEvPT_S5_T3_,@function
_Z16operation_kernelIiLj256ELj4EL23memory_operation_method0E9operationIL16kernel_operation2EiLj4ELj256EEEvPT_S5_T3_: ; @_Z16operation_kernelIiLj256ELj4EL23memory_operation_method0E9operationIL16kernel_operation2EiLj4ELj256EEEvPT_S5_T3_
; %bb.0:
	s_load_dwordx4 s[0:3], s[4:5], 0x0
	s_lshl_b32 s4, s6, 10
	s_mov_b32 s5, 0
	s_lshl_b64 s[4:5], s[4:5], 2
	v_lshlrev_b32_e32 v6, 4, v0
	s_waitcnt lgkmcnt(0)
	s_add_u32 s0, s0, s4
	s_addc_u32 s1, s1, s5
	global_load_dwordx4 v[0:3], v6, s[0:1]
	s_movk_i32 s1, 0x29a
	s_add_u32 s0, s2, s4
	s_barrier
	s_waitcnt vmcnt(0)
	v_add_u32_e32 v0, 0x29a, v0
	v_mul_lo_u32 v4, v3, v2
	v_mul_lo_u32 v7, v4, v0
	v_mul_lo_u32 v0, v7, v0
	v_mul_lo_u32 v8, v4, v1
	v_mul_lo_u32 v0, v0, v1
	v_mul_lo_u32 v7, v8, v0
	v_mul_lo_u32 v0, v7, v0
	v_mul_lo_u32 v7, v8, v0
	v_mul_lo_u32 v0, v7, v0
	v_mul_lo_u32 v7, v8, v0
	v_mul_lo_u32 v0, v7, v0
	v_mul_lo_u32 v7, v8, v0
	v_mul_lo_u32 v0, v7, v0
	v_mul_lo_u32 v7, v8, v0
	v_mul_lo_u32 v0, v7, v0
	v_mul_lo_u32 v7, v8, v0
	v_mul_lo_u32 v0, v7, v0
	v_add_u32_e32 v5, 0x29a, v1
	v_mul_lo_u32 v1, v0, v1
	v_mul_lo_u32 v0, v1, v0
	;; [unrolled: 1-line block ×19, first 2 shown]
	v_add_u32_e32 v2, 0x29a, v2
	v_mul_lo_u32 v7, v1, v0
	v_mul_lo_u32 v8, v7, v2
	;; [unrolled: 1-line block ×4, first 2 shown]
	v_mad_u64_u32 v[4:5], s[6:7], v7, s1, v[2:3]
	v_mul_lo_u32 v3, v3, v8
	v_mul_lo_u32 v5, v2, v3
	;; [unrolled: 1-line block ×29, first 2 shown]
	s_addc_u32 s1, s3, s5
	global_store_dwordx4 v6, v[0:3], s[0:1]
	s_endpgm
	.section	.rodata,"a",@progbits
	.p2align	6, 0x0
	.amdhsa_kernel _Z16operation_kernelIiLj256ELj4EL23memory_operation_method0E9operationIL16kernel_operation2EiLj4ELj256EEEvPT_S5_T3_
		.amdhsa_group_segment_fixed_size 0
		.amdhsa_private_segment_fixed_size 0
		.amdhsa_kernarg_size 20
		.amdhsa_user_sgpr_count 6
		.amdhsa_user_sgpr_private_segment_buffer 1
		.amdhsa_user_sgpr_dispatch_ptr 0
		.amdhsa_user_sgpr_queue_ptr 0
		.amdhsa_user_sgpr_kernarg_segment_ptr 1
		.amdhsa_user_sgpr_dispatch_id 0
		.amdhsa_user_sgpr_flat_scratch_init 0
		.amdhsa_user_sgpr_kernarg_preload_length 0
		.amdhsa_user_sgpr_kernarg_preload_offset 0
		.amdhsa_user_sgpr_private_segment_size 0
		.amdhsa_uses_dynamic_stack 0
		.amdhsa_system_sgpr_private_segment_wavefront_offset 0
		.amdhsa_system_sgpr_workgroup_id_x 1
		.amdhsa_system_sgpr_workgroup_id_y 0
		.amdhsa_system_sgpr_workgroup_id_z 0
		.amdhsa_system_sgpr_workgroup_info 0
		.amdhsa_system_vgpr_workitem_id 0
		.amdhsa_next_free_vgpr 9
		.amdhsa_next_free_sgpr 8
		.amdhsa_accum_offset 12
		.amdhsa_reserve_vcc 0
		.amdhsa_reserve_flat_scratch 0
		.amdhsa_float_round_mode_32 0
		.amdhsa_float_round_mode_16_64 0
		.amdhsa_float_denorm_mode_32 3
		.amdhsa_float_denorm_mode_16_64 3
		.amdhsa_dx10_clamp 1
		.amdhsa_ieee_mode 1
		.amdhsa_fp16_overflow 0
		.amdhsa_tg_split 0
		.amdhsa_exception_fp_ieee_invalid_op 0
		.amdhsa_exception_fp_denorm_src 0
		.amdhsa_exception_fp_ieee_div_zero 0
		.amdhsa_exception_fp_ieee_overflow 0
		.amdhsa_exception_fp_ieee_underflow 0
		.amdhsa_exception_fp_ieee_inexact 0
		.amdhsa_exception_int_div_zero 0
	.end_amdhsa_kernel
	.section	.text._Z16operation_kernelIiLj256ELj4EL23memory_operation_method0E9operationIL16kernel_operation2EiLj4ELj256EEEvPT_S5_T3_,"axG",@progbits,_Z16operation_kernelIiLj256ELj4EL23memory_operation_method0E9operationIL16kernel_operation2EiLj4ELj256EEEvPT_S5_T3_,comdat
.Lfunc_end42:
	.size	_Z16operation_kernelIiLj256ELj4EL23memory_operation_method0E9operationIL16kernel_operation2EiLj4ELj256EEEvPT_S5_T3_, .Lfunc_end42-_Z16operation_kernelIiLj256ELj4EL23memory_operation_method0E9operationIL16kernel_operation2EiLj4ELj256EEEvPT_S5_T3_
                                        ; -- End function
	.section	.AMDGPU.csdata,"",@progbits
; Kernel info:
; codeLenInByte = 660
; NumSgprs: 12
; NumVgprs: 9
; NumAgprs: 0
; TotalNumVgprs: 9
; ScratchSize: 0
; MemoryBound: 0
; FloatMode: 240
; IeeeMode: 1
; LDSByteSize: 0 bytes/workgroup (compile time only)
; SGPRBlocks: 1
; VGPRBlocks: 1
; NumSGPRsForWavesPerEU: 12
; NumVGPRsForWavesPerEU: 9
; AccumOffset: 12
; Occupancy: 8
; WaveLimiterHint : 0
; COMPUTE_PGM_RSRC2:SCRATCH_EN: 0
; COMPUTE_PGM_RSRC2:USER_SGPR: 6
; COMPUTE_PGM_RSRC2:TRAP_HANDLER: 0
; COMPUTE_PGM_RSRC2:TGID_X_EN: 1
; COMPUTE_PGM_RSRC2:TGID_Y_EN: 0
; COMPUTE_PGM_RSRC2:TGID_Z_EN: 0
; COMPUTE_PGM_RSRC2:TIDIG_COMP_CNT: 0
; COMPUTE_PGM_RSRC3_GFX90A:ACCUM_OFFSET: 2
; COMPUTE_PGM_RSRC3_GFX90A:TG_SPLIT: 0
	.section	.text._Z16operation_kernelIiLj256ELj8EL23memory_operation_method0E9operationIL16kernel_operation2EiLj8ELj256EEEvPT_S5_T3_,"axG",@progbits,_Z16operation_kernelIiLj256ELj8EL23memory_operation_method0E9operationIL16kernel_operation2EiLj8ELj256EEEvPT_S5_T3_,comdat
	.protected	_Z16operation_kernelIiLj256ELj8EL23memory_operation_method0E9operationIL16kernel_operation2EiLj8ELj256EEEvPT_S5_T3_ ; -- Begin function _Z16operation_kernelIiLj256ELj8EL23memory_operation_method0E9operationIL16kernel_operation2EiLj8ELj256EEEvPT_S5_T3_
	.globl	_Z16operation_kernelIiLj256ELj8EL23memory_operation_method0E9operationIL16kernel_operation2EiLj8ELj256EEEvPT_S5_T3_
	.p2align	8
	.type	_Z16operation_kernelIiLj256ELj8EL23memory_operation_method0E9operationIL16kernel_operation2EiLj8ELj256EEEvPT_S5_T3_,@function
_Z16operation_kernelIiLj256ELj8EL23memory_operation_method0E9operationIL16kernel_operation2EiLj8ELj256EEEvPT_S5_T3_: ; @_Z16operation_kernelIiLj256ELj8EL23memory_operation_method0E9operationIL16kernel_operation2EiLj8ELj256EEEvPT_S5_T3_
; %bb.0:
	s_load_dwordx4 s[0:3], s[4:5], 0x0
	s_lshl_b32 s4, s6, 11
	s_mov_b32 s5, 0
	s_lshl_b64 s[4:5], s[4:5], 2
	v_lshlrev_b32_e32 v8, 5, v0
	s_waitcnt lgkmcnt(0)
	s_add_u32 s0, s0, s4
	s_addc_u32 s1, s1, s5
	global_load_dwordx4 v[0:3], v8, s[0:1]
	global_load_dwordx4 v[4:7], v8, s[0:1] offset:16
	s_movk_i32 s6, 0x29a
	s_add_u32 s0, s2, s4
	s_addc_u32 s1, s3, s5
	s_barrier
	s_waitcnt vmcnt(1)
	v_add_u32_e32 v0, 0x29a, v0
	s_waitcnt vmcnt(0)
	v_mul_lo_u32 v9, v7, v6
	v_mul_lo_u32 v13, v9, v0
	;; [unrolled: 1-line block ×8, first 2 shown]
	v_add_u32_e32 v11, 0x29a, v1
	v_mul_lo_u32 v15, v10, v1
	v_mul_lo_u32 v1, v13, v1
	;; [unrolled: 1-line block ×8, first 2 shown]
	v_add_u32_e32 v12, 0x29a, v2
	v_mul_lo_u32 v14, v15, v2
	v_mul_lo_u32 v15, v16, v2
	v_mul_lo_u32 v2, v1, v0
	v_mul_lo_u32 v0, v2, v0
	v_mul_lo_u32 v1, v1, v0
	v_mul_lo_u32 v14, v14, v3
	v_mul_lo_u32 v0, v1, v0
	v_mul_lo_u32 v1, v14, v0
	v_mul_lo_u32 v13, v10, v13
	v_mul_lo_u32 v0, v1, v0
	v_mul_lo_u32 v1, v0, v11
	v_mul_lo_u32 v2, v13, v0
	v_mul_lo_u32 v11, v2, v1
	v_mul_lo_u32 v1, v11, v1
	v_mul_lo_u32 v11, v2, v1
	v_mul_lo_u32 v1, v11, v1
	v_mul_lo_u32 v2, v2, v1
	v_mul_lo_u32 v1, v2, v1
	v_mul_lo_u32 v2, v15, v1
	v_mul_lo_u32 v1, v2, v1
	v_mul_lo_u32 v11, v1, v0
	v_mul_lo_u32 v3, v11, v3
	v_mul_lo_u32 v4, v11, v4
	v_mul_lo_u32 v15, v10, v3
	v_mul_lo_u32 v2, v11, v12
	v_mul_lo_u32 v13, v11, v5
	v_mul_lo_u32 v17, v4, v5
	v_mul_lo_u32 v15, v9, v15
	v_mul_lo_u32 v18, v9, v13
	v_mul_lo_u32 v9, v9, v17
	v_mul_lo_u32 v17, v15, v2
	v_mul_lo_u32 v2, v17, v2
	v_mul_lo_u32 v17, v15, v2
	v_mul_lo_u32 v2, v17, v2
	v_mul_lo_u32 v15, v15, v2
	v_mul_lo_u32 v2, v15, v2
	v_mul_lo_u32 v12, v11, s6
	v_mul_lo_u32 v15, v16, v2
	v_add_u32_e32 v3, v3, v12
	v_mul_lo_u32 v2, v15, v2
	v_mul_lo_u32 v3, v3, v2
	;; [unrolled: 1-line block ×9, first 2 shown]
	v_add_u32_e32 v4, v4, v12
	v_mul_lo_u32 v9, v10, v3
	v_mul_lo_u32 v6, v11, v6
	;; [unrolled: 1-line block ×3, first 2 shown]
	v_add_u32_e32 v13, v13, v12
	v_mul_lo_u32 v4, v4, v2
	v_mul_lo_u32 v15, v18, v2
	;; [unrolled: 1-line block ×4, first 2 shown]
	v_add_u32_e32 v6, v6, v12
	v_add_u32_e32 v12, v14, v12
	v_mul_lo_u32 v13, v13, v2
	v_mul_lo_u32 v14, v14, v2
	;; [unrolled: 1-line block ×53, first 2 shown]
	global_store_dwordx4 v8, v[0:3], s[0:1]
	global_store_dwordx4 v8, v[4:7], s[0:1] offset:16
	s_endpgm
	.section	.rodata,"a",@progbits
	.p2align	6, 0x0
	.amdhsa_kernel _Z16operation_kernelIiLj256ELj8EL23memory_operation_method0E9operationIL16kernel_operation2EiLj8ELj256EEEvPT_S5_T3_
		.amdhsa_group_segment_fixed_size 0
		.amdhsa_private_segment_fixed_size 0
		.amdhsa_kernarg_size 20
		.amdhsa_user_sgpr_count 6
		.amdhsa_user_sgpr_private_segment_buffer 1
		.amdhsa_user_sgpr_dispatch_ptr 0
		.amdhsa_user_sgpr_queue_ptr 0
		.amdhsa_user_sgpr_kernarg_segment_ptr 1
		.amdhsa_user_sgpr_dispatch_id 0
		.amdhsa_user_sgpr_flat_scratch_init 0
		.amdhsa_user_sgpr_kernarg_preload_length 0
		.amdhsa_user_sgpr_kernarg_preload_offset 0
		.amdhsa_user_sgpr_private_segment_size 0
		.amdhsa_uses_dynamic_stack 0
		.amdhsa_system_sgpr_private_segment_wavefront_offset 0
		.amdhsa_system_sgpr_workgroup_id_x 1
		.amdhsa_system_sgpr_workgroup_id_y 0
		.amdhsa_system_sgpr_workgroup_id_z 0
		.amdhsa_system_sgpr_workgroup_info 0
		.amdhsa_system_vgpr_workitem_id 0
		.amdhsa_next_free_vgpr 19
		.amdhsa_next_free_sgpr 7
		.amdhsa_accum_offset 20
		.amdhsa_reserve_vcc 0
		.amdhsa_reserve_flat_scratch 0
		.amdhsa_float_round_mode_32 0
		.amdhsa_float_round_mode_16_64 0
		.amdhsa_float_denorm_mode_32 3
		.amdhsa_float_denorm_mode_16_64 3
		.amdhsa_dx10_clamp 1
		.amdhsa_ieee_mode 1
		.amdhsa_fp16_overflow 0
		.amdhsa_tg_split 0
		.amdhsa_exception_fp_ieee_invalid_op 0
		.amdhsa_exception_fp_denorm_src 0
		.amdhsa_exception_fp_ieee_div_zero 0
		.amdhsa_exception_fp_ieee_overflow 0
		.amdhsa_exception_fp_ieee_underflow 0
		.amdhsa_exception_fp_ieee_inexact 0
		.amdhsa_exception_int_div_zero 0
	.end_amdhsa_kernel
	.section	.text._Z16operation_kernelIiLj256ELj8EL23memory_operation_method0E9operationIL16kernel_operation2EiLj8ELj256EEEvPT_S5_T3_,"axG",@progbits,_Z16operation_kernelIiLj256ELj8EL23memory_operation_method0E9operationIL16kernel_operation2EiLj8ELj256EEEvPT_S5_T3_,comdat
.Lfunc_end43:
	.size	_Z16operation_kernelIiLj256ELj8EL23memory_operation_method0E9operationIL16kernel_operation2EiLj8ELj256EEEvPT_S5_T3_, .Lfunc_end43-_Z16operation_kernelIiLj256ELj8EL23memory_operation_method0E9operationIL16kernel_operation2EiLj8ELj256EEEvPT_S5_T3_
                                        ; -- End function
	.section	.AMDGPU.csdata,"",@progbits
; Kernel info:
; codeLenInByte = 1124
; NumSgprs: 11
; NumVgprs: 19
; NumAgprs: 0
; TotalNumVgprs: 19
; ScratchSize: 0
; MemoryBound: 0
; FloatMode: 240
; IeeeMode: 1
; LDSByteSize: 0 bytes/workgroup (compile time only)
; SGPRBlocks: 1
; VGPRBlocks: 2
; NumSGPRsForWavesPerEU: 11
; NumVGPRsForWavesPerEU: 19
; AccumOffset: 20
; Occupancy: 8
; WaveLimiterHint : 0
; COMPUTE_PGM_RSRC2:SCRATCH_EN: 0
; COMPUTE_PGM_RSRC2:USER_SGPR: 6
; COMPUTE_PGM_RSRC2:TRAP_HANDLER: 0
; COMPUTE_PGM_RSRC2:TGID_X_EN: 1
; COMPUTE_PGM_RSRC2:TGID_Y_EN: 0
; COMPUTE_PGM_RSRC2:TGID_Z_EN: 0
; COMPUTE_PGM_RSRC2:TIDIG_COMP_CNT: 0
; COMPUTE_PGM_RSRC3_GFX90A:ACCUM_OFFSET: 4
; COMPUTE_PGM_RSRC3_GFX90A:TG_SPLIT: 0
	.section	.text._Z16operation_kernelIiLj256ELj1EL23memory_operation_method1E9operationIL16kernel_operation2EiLj1ELj256EEEvPT_S5_T3_,"axG",@progbits,_Z16operation_kernelIiLj256ELj1EL23memory_operation_method1E9operationIL16kernel_operation2EiLj1ELj256EEEvPT_S5_T3_,comdat
	.protected	_Z16operation_kernelIiLj256ELj1EL23memory_operation_method1E9operationIL16kernel_operation2EiLj1ELj256EEEvPT_S5_T3_ ; -- Begin function _Z16operation_kernelIiLj256ELj1EL23memory_operation_method1E9operationIL16kernel_operation2EiLj1ELj256EEEvPT_S5_T3_
	.globl	_Z16operation_kernelIiLj256ELj1EL23memory_operation_method1E9operationIL16kernel_operation2EiLj1ELj256EEEvPT_S5_T3_
	.p2align	8
	.type	_Z16operation_kernelIiLj256ELj1EL23memory_operation_method1E9operationIL16kernel_operation2EiLj1ELj256EEEvPT_S5_T3_,@function
_Z16operation_kernelIiLj256ELj1EL23memory_operation_method1E9operationIL16kernel_operation2EiLj1ELj256EEEvPT_S5_T3_: ; @_Z16operation_kernelIiLj256ELj1EL23memory_operation_method1E9operationIL16kernel_operation2EiLj1ELj256EEEvPT_S5_T3_
; %bb.0:
	s_load_dwordx4 s[0:3], s[4:5], 0x0
	s_lshl_b32 s4, s6, 8
	s_mov_b32 s5, 0
	s_lshl_b64 s[4:5], s[4:5], 2
	v_lshlrev_b32_e32 v0, 2, v0
	s_waitcnt lgkmcnt(0)
	s_add_u32 s0, s0, s4
	s_addc_u32 s1, s1, s5
	global_load_dword v1, v0, s[0:1]
	s_add_u32 s0, s2, s4
	s_addc_u32 s1, s3, s5
	s_barrier
	s_waitcnt vmcnt(0)
	v_add_u32_e32 v1, 0x29a, v1
	v_mul_lo_u32 v1, v1, v1
	v_mul_lo_u32 v1, v1, v1
	;; [unrolled: 1-line block ×30, first 2 shown]
	global_store_dword v0, v1, s[0:1]
	s_endpgm
	.section	.rodata,"a",@progbits
	.p2align	6, 0x0
	.amdhsa_kernel _Z16operation_kernelIiLj256ELj1EL23memory_operation_method1E9operationIL16kernel_operation2EiLj1ELj256EEEvPT_S5_T3_
		.amdhsa_group_segment_fixed_size 0
		.amdhsa_private_segment_fixed_size 0
		.amdhsa_kernarg_size 20
		.amdhsa_user_sgpr_count 6
		.amdhsa_user_sgpr_private_segment_buffer 1
		.amdhsa_user_sgpr_dispatch_ptr 0
		.amdhsa_user_sgpr_queue_ptr 0
		.amdhsa_user_sgpr_kernarg_segment_ptr 1
		.amdhsa_user_sgpr_dispatch_id 0
		.amdhsa_user_sgpr_flat_scratch_init 0
		.amdhsa_user_sgpr_kernarg_preload_length 0
		.amdhsa_user_sgpr_kernarg_preload_offset 0
		.amdhsa_user_sgpr_private_segment_size 0
		.amdhsa_uses_dynamic_stack 0
		.amdhsa_system_sgpr_private_segment_wavefront_offset 0
		.amdhsa_system_sgpr_workgroup_id_x 1
		.amdhsa_system_sgpr_workgroup_id_y 0
		.amdhsa_system_sgpr_workgroup_id_z 0
		.amdhsa_system_sgpr_workgroup_info 0
		.amdhsa_system_vgpr_workitem_id 0
		.amdhsa_next_free_vgpr 2
		.amdhsa_next_free_sgpr 7
		.amdhsa_accum_offset 4
		.amdhsa_reserve_vcc 0
		.amdhsa_reserve_flat_scratch 0
		.amdhsa_float_round_mode_32 0
		.amdhsa_float_round_mode_16_64 0
		.amdhsa_float_denorm_mode_32 3
		.amdhsa_float_denorm_mode_16_64 3
		.amdhsa_dx10_clamp 1
		.amdhsa_ieee_mode 1
		.amdhsa_fp16_overflow 0
		.amdhsa_tg_split 0
		.amdhsa_exception_fp_ieee_invalid_op 0
		.amdhsa_exception_fp_denorm_src 0
		.amdhsa_exception_fp_ieee_div_zero 0
		.amdhsa_exception_fp_ieee_overflow 0
		.amdhsa_exception_fp_ieee_underflow 0
		.amdhsa_exception_fp_ieee_inexact 0
		.amdhsa_exception_int_div_zero 0
	.end_amdhsa_kernel
	.section	.text._Z16operation_kernelIiLj256ELj1EL23memory_operation_method1E9operationIL16kernel_operation2EiLj1ELj256EEEvPT_S5_T3_,"axG",@progbits,_Z16operation_kernelIiLj256ELj1EL23memory_operation_method1E9operationIL16kernel_operation2EiLj1ELj256EEEvPT_S5_T3_,comdat
.Lfunc_end44:
	.size	_Z16operation_kernelIiLj256ELj1EL23memory_operation_method1E9operationIL16kernel_operation2EiLj1ELj256EEEvPT_S5_T3_, .Lfunc_end44-_Z16operation_kernelIiLj256ELj1EL23memory_operation_method1E9operationIL16kernel_operation2EiLj1ELj256EEEvPT_S5_T3_
                                        ; -- End function
	.section	.AMDGPU.csdata,"",@progbits
; Kernel info:
; codeLenInByte = 320
; NumSgprs: 11
; NumVgprs: 2
; NumAgprs: 0
; TotalNumVgprs: 2
; ScratchSize: 0
; MemoryBound: 0
; FloatMode: 240
; IeeeMode: 1
; LDSByteSize: 0 bytes/workgroup (compile time only)
; SGPRBlocks: 1
; VGPRBlocks: 0
; NumSGPRsForWavesPerEU: 11
; NumVGPRsForWavesPerEU: 2
; AccumOffset: 4
; Occupancy: 8
; WaveLimiterHint : 0
; COMPUTE_PGM_RSRC2:SCRATCH_EN: 0
; COMPUTE_PGM_RSRC2:USER_SGPR: 6
; COMPUTE_PGM_RSRC2:TRAP_HANDLER: 0
; COMPUTE_PGM_RSRC2:TGID_X_EN: 1
; COMPUTE_PGM_RSRC2:TGID_Y_EN: 0
; COMPUTE_PGM_RSRC2:TGID_Z_EN: 0
; COMPUTE_PGM_RSRC2:TIDIG_COMP_CNT: 0
; COMPUTE_PGM_RSRC3_GFX90A:ACCUM_OFFSET: 0
; COMPUTE_PGM_RSRC3_GFX90A:TG_SPLIT: 0
	.section	.text._Z16operation_kernelIiLj256ELj2EL23memory_operation_method1E9operationIL16kernel_operation2EiLj2ELj256EEEvPT_S5_T3_,"axG",@progbits,_Z16operation_kernelIiLj256ELj2EL23memory_operation_method1E9operationIL16kernel_operation2EiLj2ELj256EEEvPT_S5_T3_,comdat
	.protected	_Z16operation_kernelIiLj256ELj2EL23memory_operation_method1E9operationIL16kernel_operation2EiLj2ELj256EEEvPT_S5_T3_ ; -- Begin function _Z16operation_kernelIiLj256ELj2EL23memory_operation_method1E9operationIL16kernel_operation2EiLj2ELj256EEEvPT_S5_T3_
	.globl	_Z16operation_kernelIiLj256ELj2EL23memory_operation_method1E9operationIL16kernel_operation2EiLj2ELj256EEEvPT_S5_T3_
	.p2align	8
	.type	_Z16operation_kernelIiLj256ELj2EL23memory_operation_method1E9operationIL16kernel_operation2EiLj2ELj256EEEvPT_S5_T3_,@function
_Z16operation_kernelIiLj256ELj2EL23memory_operation_method1E9operationIL16kernel_operation2EiLj2ELj256EEEvPT_S5_T3_: ; @_Z16operation_kernelIiLj256ELj2EL23memory_operation_method1E9operationIL16kernel_operation2EiLj2ELj256EEEvPT_S5_T3_
; %bb.0:
	s_load_dwordx4 s[0:3], s[4:5], 0x0
	s_lshl_b32 s4, s6, 9
	s_mov_b32 s5, 0
	s_lshl_b64 s[4:5], s[4:5], 2
	v_lshlrev_b32_e32 v0, 2, v0
	s_waitcnt lgkmcnt(0)
	s_add_u32 s0, s0, s4
	s_addc_u32 s1, s1, s5
	global_load_dword v1, v0, s[0:1]
	global_load_dword v2, v0, s[0:1] offset:1024
	s_add_u32 s0, s2, s4
	s_addc_u32 s1, s3, s5
	s_barrier
	s_waitcnt vmcnt(1)
	v_add_u32_e32 v1, 0x29a, v1
	v_mul_lo_u32 v1, v1, v1
	s_waitcnt vmcnt(0)
	v_mul_lo_u32 v1, v1, v2
	v_mul_lo_u32 v4, v1, v2
	;; [unrolled: 1-line block ×27, first 2 shown]
	v_add_u32_e32 v3, 0x29a, v2
	v_mul_lo_u32 v2, v1, v2
	v_mul_lo_u32 v1, v2, v1
	;; [unrolled: 1-line block ×32, first 2 shown]
	global_store_dword v0, v1, s[0:1]
	global_store_dword v0, v2, s[0:1] offset:1024
	s_endpgm
	.section	.rodata,"a",@progbits
	.p2align	6, 0x0
	.amdhsa_kernel _Z16operation_kernelIiLj256ELj2EL23memory_operation_method1E9operationIL16kernel_operation2EiLj2ELj256EEEvPT_S5_T3_
		.amdhsa_group_segment_fixed_size 0
		.amdhsa_private_segment_fixed_size 0
		.amdhsa_kernarg_size 20
		.amdhsa_user_sgpr_count 6
		.amdhsa_user_sgpr_private_segment_buffer 1
		.amdhsa_user_sgpr_dispatch_ptr 0
		.amdhsa_user_sgpr_queue_ptr 0
		.amdhsa_user_sgpr_kernarg_segment_ptr 1
		.amdhsa_user_sgpr_dispatch_id 0
		.amdhsa_user_sgpr_flat_scratch_init 0
		.amdhsa_user_sgpr_kernarg_preload_length 0
		.amdhsa_user_sgpr_kernarg_preload_offset 0
		.amdhsa_user_sgpr_private_segment_size 0
		.amdhsa_uses_dynamic_stack 0
		.amdhsa_system_sgpr_private_segment_wavefront_offset 0
		.amdhsa_system_sgpr_workgroup_id_x 1
		.amdhsa_system_sgpr_workgroup_id_y 0
		.amdhsa_system_sgpr_workgroup_id_z 0
		.amdhsa_system_sgpr_workgroup_info 0
		.amdhsa_system_vgpr_workitem_id 0
		.amdhsa_next_free_vgpr 5
		.amdhsa_next_free_sgpr 7
		.amdhsa_accum_offset 8
		.amdhsa_reserve_vcc 0
		.amdhsa_reserve_flat_scratch 0
		.amdhsa_float_round_mode_32 0
		.amdhsa_float_round_mode_16_64 0
		.amdhsa_float_denorm_mode_32 3
		.amdhsa_float_denorm_mode_16_64 3
		.amdhsa_dx10_clamp 1
		.amdhsa_ieee_mode 1
		.amdhsa_fp16_overflow 0
		.amdhsa_tg_split 0
		.amdhsa_exception_fp_ieee_invalid_op 0
		.amdhsa_exception_fp_denorm_src 0
		.amdhsa_exception_fp_ieee_div_zero 0
		.amdhsa_exception_fp_ieee_overflow 0
		.amdhsa_exception_fp_ieee_underflow 0
		.amdhsa_exception_fp_ieee_inexact 0
		.amdhsa_exception_int_div_zero 0
	.end_amdhsa_kernel
	.section	.text._Z16operation_kernelIiLj256ELj2EL23memory_operation_method1E9operationIL16kernel_operation2EiLj2ELj256EEEvPT_S5_T3_,"axG",@progbits,_Z16operation_kernelIiLj256ELj2EL23memory_operation_method1E9operationIL16kernel_operation2EiLj2ELj256EEEvPT_S5_T3_,comdat
.Lfunc_end45:
	.size	_Z16operation_kernelIiLj256ELj2EL23memory_operation_method1E9operationIL16kernel_operation2EiLj2ELj256EEEvPT_S5_T3_, .Lfunc_end45-_Z16operation_kernelIiLj256ELj2EL23memory_operation_method1E9operationIL16kernel_operation2EiLj2ELj256EEEvPT_S5_T3_
                                        ; -- End function
	.section	.AMDGPU.csdata,"",@progbits
; Kernel info:
; codeLenInByte = 588
; NumSgprs: 11
; NumVgprs: 5
; NumAgprs: 0
; TotalNumVgprs: 5
; ScratchSize: 0
; MemoryBound: 0
; FloatMode: 240
; IeeeMode: 1
; LDSByteSize: 0 bytes/workgroup (compile time only)
; SGPRBlocks: 1
; VGPRBlocks: 0
; NumSGPRsForWavesPerEU: 11
; NumVGPRsForWavesPerEU: 5
; AccumOffset: 8
; Occupancy: 8
; WaveLimiterHint : 1
; COMPUTE_PGM_RSRC2:SCRATCH_EN: 0
; COMPUTE_PGM_RSRC2:USER_SGPR: 6
; COMPUTE_PGM_RSRC2:TRAP_HANDLER: 0
; COMPUTE_PGM_RSRC2:TGID_X_EN: 1
; COMPUTE_PGM_RSRC2:TGID_Y_EN: 0
; COMPUTE_PGM_RSRC2:TGID_Z_EN: 0
; COMPUTE_PGM_RSRC2:TIDIG_COMP_CNT: 0
; COMPUTE_PGM_RSRC3_GFX90A:ACCUM_OFFSET: 1
; COMPUTE_PGM_RSRC3_GFX90A:TG_SPLIT: 0
	.section	.text._Z16operation_kernelIiLj256ELj4EL23memory_operation_method1E9operationIL16kernel_operation2EiLj4ELj256EEEvPT_S5_T3_,"axG",@progbits,_Z16operation_kernelIiLj256ELj4EL23memory_operation_method1E9operationIL16kernel_operation2EiLj4ELj256EEEvPT_S5_T3_,comdat
	.protected	_Z16operation_kernelIiLj256ELj4EL23memory_operation_method1E9operationIL16kernel_operation2EiLj4ELj256EEEvPT_S5_T3_ ; -- Begin function _Z16operation_kernelIiLj256ELj4EL23memory_operation_method1E9operationIL16kernel_operation2EiLj4ELj256EEEvPT_S5_T3_
	.globl	_Z16operation_kernelIiLj256ELj4EL23memory_operation_method1E9operationIL16kernel_operation2EiLj4ELj256EEEvPT_S5_T3_
	.p2align	8
	.type	_Z16operation_kernelIiLj256ELj4EL23memory_operation_method1E9operationIL16kernel_operation2EiLj4ELj256EEEvPT_S5_T3_,@function
_Z16operation_kernelIiLj256ELj4EL23memory_operation_method1E9operationIL16kernel_operation2EiLj4ELj256EEEvPT_S5_T3_: ; @_Z16operation_kernelIiLj256ELj4EL23memory_operation_method1E9operationIL16kernel_operation2EiLj4ELj256EEEvPT_S5_T3_
; %bb.0:
	s_load_dwordx4 s[0:3], s[4:5], 0x0
	s_lshl_b32 s4, s6, 10
	s_mov_b32 s5, 0
	s_lshl_b64 s[4:5], s[4:5], 2
	v_lshlrev_b32_e32 v1, 2, v0
	s_waitcnt lgkmcnt(0)
	s_add_u32 s0, s0, s4
	s_addc_u32 s1, s1, s5
	global_load_dword v0, v1, s[0:1]
	global_load_dword v2, v1, s[0:1] offset:2048
	global_load_dword v3, v1, s[0:1] offset:3072
	;; [unrolled: 1-line block ×3, first 2 shown]
	s_add_u32 s0, s2, s4
	s_addc_u32 s1, s3, s5
	s_movk_i32 s6, 0x29a
	s_barrier
	s_waitcnt vmcnt(3)
	v_add_u32_e32 v0, 0x29a, v0
	s_waitcnt vmcnt(1)
	v_mul_lo_u32 v5, v3, v2
	v_mul_lo_u32 v7, v5, v0
	;; [unrolled: 1-line block ×3, first 2 shown]
	s_waitcnt vmcnt(0)
	v_mul_lo_u32 v8, v5, v4
	v_mul_lo_u32 v0, v0, v4
	v_mul_lo_u32 v7, v8, v0
	v_mul_lo_u32 v0, v7, v0
	v_mul_lo_u32 v7, v8, v0
	v_mul_lo_u32 v0, v7, v0
	v_mul_lo_u32 v7, v8, v0
	v_mul_lo_u32 v0, v7, v0
	v_mul_lo_u32 v7, v8, v0
	v_mul_lo_u32 v0, v7, v0
	v_mul_lo_u32 v7, v8, v0
	v_mul_lo_u32 v0, v7, v0
	v_mul_lo_u32 v7, v8, v0
	v_mul_lo_u32 v0, v7, v0
	v_add_u32_e32 v6, 0x29a, v4
	v_mul_lo_u32 v4, v0, v4
	v_mul_lo_u32 v0, v4, v0
	;; [unrolled: 1-line block ×19, first 2 shown]
	v_add_u32_e32 v2, 0x29a, v2
	v_mul_lo_u32 v5, v4, v0
	global_store_dword v1, v0, s[0:1]
	global_store_dword v1, v4, s[0:1] offset:1024
	v_mul_lo_u32 v4, v5, v2
	v_mul_lo_u32 v0, v5, v3
	;; [unrolled: 1-line block ×3, first 2 shown]
	v_mad_u64_u32 v[2:3], s[2:3], v5, s6, v[0:1]
	v_mul_lo_u32 v3, v6, v4
	v_mul_lo_u32 v4, v0, v3
	;; [unrolled: 1-line block ×29, first 2 shown]
	global_store_dword v1, v0, s[0:1] offset:2048
	global_store_dword v1, v2, s[0:1] offset:3072
	s_endpgm
	.section	.rodata,"a",@progbits
	.p2align	6, 0x0
	.amdhsa_kernel _Z16operation_kernelIiLj256ELj4EL23memory_operation_method1E9operationIL16kernel_operation2EiLj4ELj256EEEvPT_S5_T3_
		.amdhsa_group_segment_fixed_size 0
		.amdhsa_private_segment_fixed_size 0
		.amdhsa_kernarg_size 20
		.amdhsa_user_sgpr_count 6
		.amdhsa_user_sgpr_private_segment_buffer 1
		.amdhsa_user_sgpr_dispatch_ptr 0
		.amdhsa_user_sgpr_queue_ptr 0
		.amdhsa_user_sgpr_kernarg_segment_ptr 1
		.amdhsa_user_sgpr_dispatch_id 0
		.amdhsa_user_sgpr_flat_scratch_init 0
		.amdhsa_user_sgpr_kernarg_preload_length 0
		.amdhsa_user_sgpr_kernarg_preload_offset 0
		.amdhsa_user_sgpr_private_segment_size 0
		.amdhsa_uses_dynamic_stack 0
		.amdhsa_system_sgpr_private_segment_wavefront_offset 0
		.amdhsa_system_sgpr_workgroup_id_x 1
		.amdhsa_system_sgpr_workgroup_id_y 0
		.amdhsa_system_sgpr_workgroup_id_z 0
		.amdhsa_system_sgpr_workgroup_info 0
		.amdhsa_system_vgpr_workitem_id 0
		.amdhsa_next_free_vgpr 9
		.amdhsa_next_free_sgpr 7
		.amdhsa_accum_offset 12
		.amdhsa_reserve_vcc 0
		.amdhsa_reserve_flat_scratch 0
		.amdhsa_float_round_mode_32 0
		.amdhsa_float_round_mode_16_64 0
		.amdhsa_float_denorm_mode_32 3
		.amdhsa_float_denorm_mode_16_64 3
		.amdhsa_dx10_clamp 1
		.amdhsa_ieee_mode 1
		.amdhsa_fp16_overflow 0
		.amdhsa_tg_split 0
		.amdhsa_exception_fp_ieee_invalid_op 0
		.amdhsa_exception_fp_denorm_src 0
		.amdhsa_exception_fp_ieee_div_zero 0
		.amdhsa_exception_fp_ieee_overflow 0
		.amdhsa_exception_fp_ieee_underflow 0
		.amdhsa_exception_fp_ieee_inexact 0
		.amdhsa_exception_int_div_zero 0
	.end_amdhsa_kernel
	.section	.text._Z16operation_kernelIiLj256ELj4EL23memory_operation_method1E9operationIL16kernel_operation2EiLj4ELj256EEEvPT_S5_T3_,"axG",@progbits,_Z16operation_kernelIiLj256ELj4EL23memory_operation_method1E9operationIL16kernel_operation2EiLj4ELj256EEEvPT_S5_T3_,comdat
.Lfunc_end46:
	.size	_Z16operation_kernelIiLj256ELj4EL23memory_operation_method1E9operationIL16kernel_operation2EiLj4ELj256EEEvPT_S5_T3_, .Lfunc_end46-_Z16operation_kernelIiLj256ELj4EL23memory_operation_method1E9operationIL16kernel_operation2EiLj4ELj256EEEvPT_S5_T3_
                                        ; -- End function
	.section	.AMDGPU.csdata,"",@progbits
; Kernel info:
; codeLenInByte = 716
; NumSgprs: 11
; NumVgprs: 9
; NumAgprs: 0
; TotalNumVgprs: 9
; ScratchSize: 0
; MemoryBound: 0
; FloatMode: 240
; IeeeMode: 1
; LDSByteSize: 0 bytes/workgroup (compile time only)
; SGPRBlocks: 1
; VGPRBlocks: 1
; NumSGPRsForWavesPerEU: 11
; NumVGPRsForWavesPerEU: 9
; AccumOffset: 12
; Occupancy: 8
; WaveLimiterHint : 1
; COMPUTE_PGM_RSRC2:SCRATCH_EN: 0
; COMPUTE_PGM_RSRC2:USER_SGPR: 6
; COMPUTE_PGM_RSRC2:TRAP_HANDLER: 0
; COMPUTE_PGM_RSRC2:TGID_X_EN: 1
; COMPUTE_PGM_RSRC2:TGID_Y_EN: 0
; COMPUTE_PGM_RSRC2:TGID_Z_EN: 0
; COMPUTE_PGM_RSRC2:TIDIG_COMP_CNT: 0
; COMPUTE_PGM_RSRC3_GFX90A:ACCUM_OFFSET: 2
; COMPUTE_PGM_RSRC3_GFX90A:TG_SPLIT: 0
	.section	.text._Z16operation_kernelIiLj256ELj8EL23memory_operation_method1E9operationIL16kernel_operation2EiLj8ELj256EEEvPT_S5_T3_,"axG",@progbits,_Z16operation_kernelIiLj256ELj8EL23memory_operation_method1E9operationIL16kernel_operation2EiLj8ELj256EEEvPT_S5_T3_,comdat
	.protected	_Z16operation_kernelIiLj256ELj8EL23memory_operation_method1E9operationIL16kernel_operation2EiLj8ELj256EEEvPT_S5_T3_ ; -- Begin function _Z16operation_kernelIiLj256ELj8EL23memory_operation_method1E9operationIL16kernel_operation2EiLj8ELj256EEEvPT_S5_T3_
	.globl	_Z16operation_kernelIiLj256ELj8EL23memory_operation_method1E9operationIL16kernel_operation2EiLj8ELj256EEEvPT_S5_T3_
	.p2align	8
	.type	_Z16operation_kernelIiLj256ELj8EL23memory_operation_method1E9operationIL16kernel_operation2EiLj8ELj256EEEvPT_S5_T3_,@function
_Z16operation_kernelIiLj256ELj8EL23memory_operation_method1E9operationIL16kernel_operation2EiLj8ELj256EEEvPT_S5_T3_: ; @_Z16operation_kernelIiLj256ELj8EL23memory_operation_method1E9operationIL16kernel_operation2EiLj8ELj256EEEvPT_S5_T3_
; %bb.0:
	s_load_dwordx4 s[0:3], s[4:5], 0x0
	s_lshl_b32 s4, s6, 11
	s_mov_b32 s5, 0
	s_lshl_b64 s[4:5], s[4:5], 2
	v_lshlrev_b32_e32 v2, 2, v0
	s_waitcnt lgkmcnt(0)
	s_add_u32 s0, s0, s4
	s_addc_u32 s1, s1, s5
	v_mov_b32_e32 v0, s1
	v_add_co_u32_e32 v1, vcc, s0, v2
	v_addc_co_u32_e32 v3, vcc, 0, v0, vcc
	s_movk_i32 s6, 0x1000
	v_add_co_u32_e32 v0, vcc, s6, v1
	global_load_dword v4, v2, s[0:1]
	global_load_dword v5, v2, s[0:1] offset:1024
	global_load_dword v6, v2, s[0:1] offset:2048
	v_addc_co_u32_e32 v1, vcc, 0, v3, vcc
	global_load_dword v3, v[0:1], off offset:2048
	global_load_dword v7, v[0:1], off offset:3072
	global_load_dword v8, v[0:1], off
	global_load_dword v9, v[0:1], off offset:1024
	global_load_dword v10, v2, s[0:1] offset:3072
	s_movk_i32 s6, 0x29a
	s_add_u32 s0, s2, s4
	s_addc_u32 s1, s3, s5
	v_mov_b32_e32 v0, s1
	s_barrier
	s_waitcnt vmcnt(7)
	v_add_u32_e32 v1, 0x29a, v4
	s_waitcnt vmcnt(6)
	v_add_u32_e32 v4, 0x29a, v5
	s_waitcnt vmcnt(3)
	v_mul_lo_u32 v12, v7, v3
	v_mul_lo_u32 v14, v12, v1
	;; [unrolled: 1-line block ×5, first 2 shown]
	s_waitcnt vmcnt(1)
	v_mul_lo_u32 v13, v9, v8
	s_waitcnt vmcnt(0)
	v_mul_lo_u32 v14, v15, v10
	v_mul_lo_u32 v1, v1, v6
	;; [unrolled: 1-line block ×10, first 2 shown]
	v_add_u32_e32 v11, 0x29a, v6
	v_mul_lo_u32 v15, v16, v6
	v_mul_lo_u32 v16, v17, v6
	;; [unrolled: 1-line block ×38, first 2 shown]
	v_add_u32_e32 v10, v10, v11
	v_mul_lo_u32 v6, v16, v6
	v_mul_lo_u32 v10, v10, v6
	;; [unrolled: 1-line block ×9, first 2 shown]
	v_add_u32_e32 v8, v8, v11
	v_mul_lo_u32 v12, v13, v10
	v_mul_lo_u32 v3, v5, v3
	;; [unrolled: 1-line block ×3, first 2 shown]
	v_add_u32_e32 v14, v14, v11
	v_mul_lo_u32 v8, v8, v6
	v_mul_lo_u32 v16, v19, v6
	;; [unrolled: 1-line block ×4, first 2 shown]
	v_add_u32_e32 v3, v3, v11
	v_add_u32_e32 v11, v15, v11
	v_mul_lo_u32 v14, v14, v6
	v_mul_lo_u32 v15, v15, v6
	v_mul_lo_u32 v8, v8, v10
	v_mul_lo_u32 v12, v16, v10
	v_mul_lo_u32 v13, v14, v10
	v_mul_lo_u32 v14, v15, v10
	v_mul_lo_u32 v15, v12, v8
	v_mul_lo_u32 v8, v15, v8
	v_mul_lo_u32 v15, v12, v8
	v_mul_lo_u32 v8, v15, v8
	v_mul_lo_u32 v12, v12, v8
	v_mul_lo_u32 v8, v12, v8
	v_mul_lo_u32 v7, v7, v6
	v_mul_lo_u32 v9, v8, v9
	v_mul_lo_u32 v7, v7, v10
	v_mul_lo_u32 v8, v9, v8
	v_mul_lo_u32 v9, v13, v8
	v_mul_lo_u32 v7, v7, v8
	v_mul_lo_u32 v13, v7, v9
	v_mul_lo_u32 v9, v13, v9
	v_mul_lo_u32 v13, v7, v9
	v_mul_lo_u32 v9, v13, v9
	v_mul_lo_u32 v3, v3, v6
	v_mul_lo_u32 v7, v7, v9
	v_mul_lo_u32 v3, v3, v10
	v_mul_lo_u32 v7, v7, v9
	v_mul_lo_u32 v3, v3, v8
	v_mul_lo_u32 v12, v14, v8
	v_mul_lo_u32 v7, v7, v7
	v_mul_lo_u32 v3, v3, v7
	v_mul_lo_u32 v9, v12, v7
	v_mul_lo_u32 v12, v9, v3
	v_mul_lo_u32 v3, v12, v3
	v_mul_lo_u32 v11, v11, v6
	v_mul_lo_u32 v5, v5, v6
	v_mul_lo_u32 v12, v9, v3
	v_mul_lo_u32 v11, v11, v10
	v_mul_lo_u32 v5, v5, v10
	v_mul_lo_u32 v3, v12, v3
	v_mul_lo_u32 v11, v11, v8
	v_mul_lo_u32 v5, v5, v8
	v_mul_lo_u32 v9, v9, v3
	v_mul_lo_u32 v11, v11, v7
	v_mul_lo_u32 v5, v5, v7
	v_mul_lo_u32 v3, v9, v3
	v_mul_lo_u32 v9, v11, v3
	v_mul_lo_u32 v11, v5, v3
	v_mul_lo_u32 v12, v11, v9
	v_mul_lo_u32 v9, v12, v9
	v_mul_lo_u32 v11, v11, v9
	v_mul_lo_u32 v9, v11, v9
	v_mul_lo_u32 v5, v5, v9
	v_mul_lo_u32 v5, v5, v9
	v_add_co_u32_e32 v9, vcc, s0, v2
	v_addc_co_u32_e32 v11, vcc, 0, v0, vcc
	v_add_co_u32_e32 v0, vcc, 0x1000, v9
	global_store_dword v2, v1, s[0:1]
	global_store_dword v2, v4, s[0:1] offset:1024
	global_store_dword v2, v6, s[0:1] offset:2048
	;; [unrolled: 1-line block ×3, first 2 shown]
	v_addc_co_u32_e32 v1, vcc, 0, v11, vcc
	global_store_dword v[0:1], v8, off
	global_store_dword v[0:1], v7, off offset:1024
	global_store_dword v[0:1], v3, off offset:2048
	;; [unrolled: 1-line block ×3, first 2 shown]
	s_endpgm
	.section	.rodata,"a",@progbits
	.p2align	6, 0x0
	.amdhsa_kernel _Z16operation_kernelIiLj256ELj8EL23memory_operation_method1E9operationIL16kernel_operation2EiLj8ELj256EEEvPT_S5_T3_
		.amdhsa_group_segment_fixed_size 0
		.amdhsa_private_segment_fixed_size 0
		.amdhsa_kernarg_size 20
		.amdhsa_user_sgpr_count 6
		.amdhsa_user_sgpr_private_segment_buffer 1
		.amdhsa_user_sgpr_dispatch_ptr 0
		.amdhsa_user_sgpr_queue_ptr 0
		.amdhsa_user_sgpr_kernarg_segment_ptr 1
		.amdhsa_user_sgpr_dispatch_id 0
		.amdhsa_user_sgpr_flat_scratch_init 0
		.amdhsa_user_sgpr_kernarg_preload_length 0
		.amdhsa_user_sgpr_kernarg_preload_offset 0
		.amdhsa_user_sgpr_private_segment_size 0
		.amdhsa_uses_dynamic_stack 0
		.amdhsa_system_sgpr_private_segment_wavefront_offset 0
		.amdhsa_system_sgpr_workgroup_id_x 1
		.amdhsa_system_sgpr_workgroup_id_y 0
		.amdhsa_system_sgpr_workgroup_id_z 0
		.amdhsa_system_sgpr_workgroup_info 0
		.amdhsa_system_vgpr_workitem_id 0
		.amdhsa_next_free_vgpr 20
		.amdhsa_next_free_sgpr 7
		.amdhsa_accum_offset 20
		.amdhsa_reserve_vcc 1
		.amdhsa_reserve_flat_scratch 0
		.amdhsa_float_round_mode_32 0
		.amdhsa_float_round_mode_16_64 0
		.amdhsa_float_denorm_mode_32 3
		.amdhsa_float_denorm_mode_16_64 3
		.amdhsa_dx10_clamp 1
		.amdhsa_ieee_mode 1
		.amdhsa_fp16_overflow 0
		.amdhsa_tg_split 0
		.amdhsa_exception_fp_ieee_invalid_op 0
		.amdhsa_exception_fp_denorm_src 0
		.amdhsa_exception_fp_ieee_div_zero 0
		.amdhsa_exception_fp_ieee_overflow 0
		.amdhsa_exception_fp_ieee_underflow 0
		.amdhsa_exception_fp_ieee_inexact 0
		.amdhsa_exception_int_div_zero 0
	.end_amdhsa_kernel
	.section	.text._Z16operation_kernelIiLj256ELj8EL23memory_operation_method1E9operationIL16kernel_operation2EiLj8ELj256EEEvPT_S5_T3_,"axG",@progbits,_Z16operation_kernelIiLj256ELj8EL23memory_operation_method1E9operationIL16kernel_operation2EiLj8ELj256EEEvPT_S5_T3_,comdat
.Lfunc_end47:
	.size	_Z16operation_kernelIiLj256ELj8EL23memory_operation_method1E9operationIL16kernel_operation2EiLj8ELj256EEEvPT_S5_T3_, .Lfunc_end47-_Z16operation_kernelIiLj256ELj8EL23memory_operation_method1E9operationIL16kernel_operation2EiLj8ELj256EEEvPT_S5_T3_
                                        ; -- End function
	.section	.AMDGPU.csdata,"",@progbits
; Kernel info:
; codeLenInByte = 1280
; NumSgprs: 11
; NumVgprs: 20
; NumAgprs: 0
; TotalNumVgprs: 20
; ScratchSize: 0
; MemoryBound: 0
; FloatMode: 240
; IeeeMode: 1
; LDSByteSize: 0 bytes/workgroup (compile time only)
; SGPRBlocks: 1
; VGPRBlocks: 2
; NumSGPRsForWavesPerEU: 11
; NumVGPRsForWavesPerEU: 20
; AccumOffset: 20
; Occupancy: 8
; WaveLimiterHint : 1
; COMPUTE_PGM_RSRC2:SCRATCH_EN: 0
; COMPUTE_PGM_RSRC2:USER_SGPR: 6
; COMPUTE_PGM_RSRC2:TRAP_HANDLER: 0
; COMPUTE_PGM_RSRC2:TGID_X_EN: 1
; COMPUTE_PGM_RSRC2:TGID_Y_EN: 0
; COMPUTE_PGM_RSRC2:TGID_Z_EN: 0
; COMPUTE_PGM_RSRC2:TIDIG_COMP_CNT: 0
; COMPUTE_PGM_RSRC3_GFX90A:ACCUM_OFFSET: 4
; COMPUTE_PGM_RSRC3_GFX90A:TG_SPLIT: 0
	.section	.text._Z16operation_kernelIiLj256ELj1EL23memory_operation_method2E9operationIL16kernel_operation2EiLj1ELj256EEEvPT_S5_T3_,"axG",@progbits,_Z16operation_kernelIiLj256ELj1EL23memory_operation_method2E9operationIL16kernel_operation2EiLj1ELj256EEEvPT_S5_T3_,comdat
	.protected	_Z16operation_kernelIiLj256ELj1EL23memory_operation_method2E9operationIL16kernel_operation2EiLj1ELj256EEEvPT_S5_T3_ ; -- Begin function _Z16operation_kernelIiLj256ELj1EL23memory_operation_method2E9operationIL16kernel_operation2EiLj1ELj256EEEvPT_S5_T3_
	.globl	_Z16operation_kernelIiLj256ELj1EL23memory_operation_method2E9operationIL16kernel_operation2EiLj1ELj256EEEvPT_S5_T3_
	.p2align	8
	.type	_Z16operation_kernelIiLj256ELj1EL23memory_operation_method2E9operationIL16kernel_operation2EiLj1ELj256EEEvPT_S5_T3_,@function
_Z16operation_kernelIiLj256ELj1EL23memory_operation_method2E9operationIL16kernel_operation2EiLj1ELj256EEEvPT_S5_T3_: ; @_Z16operation_kernelIiLj256ELj1EL23memory_operation_method2E9operationIL16kernel_operation2EiLj1ELj256EEEvPT_S5_T3_
; %bb.0:
	s_load_dwordx4 s[0:3], s[4:5], 0x0
	s_lshl_b32 s4, s6, 8
	s_mov_b32 s5, 0
	s_lshl_b64 s[4:5], s[4:5], 2
	v_lshlrev_b32_e32 v0, 2, v0
	s_waitcnt lgkmcnt(0)
	s_add_u32 s0, s0, s4
	s_addc_u32 s1, s1, s5
	global_load_dword v1, v0, s[0:1]
	s_add_u32 s0, s2, s4
	s_addc_u32 s1, s3, s5
	s_barrier
	s_waitcnt vmcnt(0)
	v_add_u32_e32 v1, 0x29a, v1
	v_mul_lo_u32 v1, v1, v1
	v_mul_lo_u32 v1, v1, v1
	v_mul_lo_u32 v1, v1, v1
	v_mul_lo_u32 v1, v1, v1
	v_mul_lo_u32 v1, v1, v1
	v_mul_lo_u32 v1, v1, v1
	v_mul_lo_u32 v1, v1, v1
	v_mul_lo_u32 v1, v1, v1
	v_mul_lo_u32 v1, v1, v1
	v_mul_lo_u32 v1, v1, v1
	v_mul_lo_u32 v1, v1, v1
	v_mul_lo_u32 v1, v1, v1
	v_mul_lo_u32 v1, v1, v1
	v_mul_lo_u32 v1, v1, v1
	v_mul_lo_u32 v1, v1, v1
	v_mul_lo_u32 v1, v1, v1
	v_mul_lo_u32 v1, v1, v1
	v_mul_lo_u32 v1, v1, v1
	v_mul_lo_u32 v1, v1, v1
	v_mul_lo_u32 v1, v1, v1
	v_mul_lo_u32 v1, v1, v1
	v_mul_lo_u32 v1, v1, v1
	v_mul_lo_u32 v1, v1, v1
	v_mul_lo_u32 v1, v1, v1
	v_mul_lo_u32 v1, v1, v1
	v_mul_lo_u32 v1, v1, v1
	v_mul_lo_u32 v1, v1, v1
	v_mul_lo_u32 v1, v1, v1
	v_mul_lo_u32 v1, v1, v1
	v_mul_lo_u32 v1, v1, v1
	global_store_dword v0, v1, s[0:1]
	s_endpgm
	.section	.rodata,"a",@progbits
	.p2align	6, 0x0
	.amdhsa_kernel _Z16operation_kernelIiLj256ELj1EL23memory_operation_method2E9operationIL16kernel_operation2EiLj1ELj256EEEvPT_S5_T3_
		.amdhsa_group_segment_fixed_size 0
		.amdhsa_private_segment_fixed_size 0
		.amdhsa_kernarg_size 20
		.amdhsa_user_sgpr_count 6
		.amdhsa_user_sgpr_private_segment_buffer 1
		.amdhsa_user_sgpr_dispatch_ptr 0
		.amdhsa_user_sgpr_queue_ptr 0
		.amdhsa_user_sgpr_kernarg_segment_ptr 1
		.amdhsa_user_sgpr_dispatch_id 0
		.amdhsa_user_sgpr_flat_scratch_init 0
		.amdhsa_user_sgpr_kernarg_preload_length 0
		.amdhsa_user_sgpr_kernarg_preload_offset 0
		.amdhsa_user_sgpr_private_segment_size 0
		.amdhsa_uses_dynamic_stack 0
		.amdhsa_system_sgpr_private_segment_wavefront_offset 0
		.amdhsa_system_sgpr_workgroup_id_x 1
		.amdhsa_system_sgpr_workgroup_id_y 0
		.amdhsa_system_sgpr_workgroup_id_z 0
		.amdhsa_system_sgpr_workgroup_info 0
		.amdhsa_system_vgpr_workitem_id 0
		.amdhsa_next_free_vgpr 2
		.amdhsa_next_free_sgpr 7
		.amdhsa_accum_offset 4
		.amdhsa_reserve_vcc 0
		.amdhsa_reserve_flat_scratch 0
		.amdhsa_float_round_mode_32 0
		.amdhsa_float_round_mode_16_64 0
		.amdhsa_float_denorm_mode_32 3
		.amdhsa_float_denorm_mode_16_64 3
		.amdhsa_dx10_clamp 1
		.amdhsa_ieee_mode 1
		.amdhsa_fp16_overflow 0
		.amdhsa_tg_split 0
		.amdhsa_exception_fp_ieee_invalid_op 0
		.amdhsa_exception_fp_denorm_src 0
		.amdhsa_exception_fp_ieee_div_zero 0
		.amdhsa_exception_fp_ieee_overflow 0
		.amdhsa_exception_fp_ieee_underflow 0
		.amdhsa_exception_fp_ieee_inexact 0
		.amdhsa_exception_int_div_zero 0
	.end_amdhsa_kernel
	.section	.text._Z16operation_kernelIiLj256ELj1EL23memory_operation_method2E9operationIL16kernel_operation2EiLj1ELj256EEEvPT_S5_T3_,"axG",@progbits,_Z16operation_kernelIiLj256ELj1EL23memory_operation_method2E9operationIL16kernel_operation2EiLj1ELj256EEEvPT_S5_T3_,comdat
.Lfunc_end48:
	.size	_Z16operation_kernelIiLj256ELj1EL23memory_operation_method2E9operationIL16kernel_operation2EiLj1ELj256EEEvPT_S5_T3_, .Lfunc_end48-_Z16operation_kernelIiLj256ELj1EL23memory_operation_method2E9operationIL16kernel_operation2EiLj1ELj256EEEvPT_S5_T3_
                                        ; -- End function
	.section	.AMDGPU.csdata,"",@progbits
; Kernel info:
; codeLenInByte = 320
; NumSgprs: 11
; NumVgprs: 2
; NumAgprs: 0
; TotalNumVgprs: 2
; ScratchSize: 0
; MemoryBound: 0
; FloatMode: 240
; IeeeMode: 1
; LDSByteSize: 0 bytes/workgroup (compile time only)
; SGPRBlocks: 1
; VGPRBlocks: 0
; NumSGPRsForWavesPerEU: 11
; NumVGPRsForWavesPerEU: 2
; AccumOffset: 4
; Occupancy: 8
; WaveLimiterHint : 0
; COMPUTE_PGM_RSRC2:SCRATCH_EN: 0
; COMPUTE_PGM_RSRC2:USER_SGPR: 6
; COMPUTE_PGM_RSRC2:TRAP_HANDLER: 0
; COMPUTE_PGM_RSRC2:TGID_X_EN: 1
; COMPUTE_PGM_RSRC2:TGID_Y_EN: 0
; COMPUTE_PGM_RSRC2:TGID_Z_EN: 0
; COMPUTE_PGM_RSRC2:TIDIG_COMP_CNT: 0
; COMPUTE_PGM_RSRC3_GFX90A:ACCUM_OFFSET: 0
; COMPUTE_PGM_RSRC3_GFX90A:TG_SPLIT: 0
	.section	.text._Z16operation_kernelIiLj256ELj2EL23memory_operation_method2E9operationIL16kernel_operation2EiLj2ELj256EEEvPT_S5_T3_,"axG",@progbits,_Z16operation_kernelIiLj256ELj2EL23memory_operation_method2E9operationIL16kernel_operation2EiLj2ELj256EEEvPT_S5_T3_,comdat
	.protected	_Z16operation_kernelIiLj256ELj2EL23memory_operation_method2E9operationIL16kernel_operation2EiLj2ELj256EEEvPT_S5_T3_ ; -- Begin function _Z16operation_kernelIiLj256ELj2EL23memory_operation_method2E9operationIL16kernel_operation2EiLj2ELj256EEEvPT_S5_T3_
	.globl	_Z16operation_kernelIiLj256ELj2EL23memory_operation_method2E9operationIL16kernel_operation2EiLj2ELj256EEEvPT_S5_T3_
	.p2align	8
	.type	_Z16operation_kernelIiLj256ELj2EL23memory_operation_method2E9operationIL16kernel_operation2EiLj2ELj256EEEvPT_S5_T3_,@function
_Z16operation_kernelIiLj256ELj2EL23memory_operation_method2E9operationIL16kernel_operation2EiLj2ELj256EEEvPT_S5_T3_: ; @_Z16operation_kernelIiLj256ELj2EL23memory_operation_method2E9operationIL16kernel_operation2EiLj2ELj256EEEvPT_S5_T3_
; %bb.0:
	s_load_dwordx4 s[0:3], s[4:5], 0x0
	s_lshl_b32 s4, s6, 9
	s_mov_b32 s5, 0
	s_lshl_b64 s[4:5], s[4:5], 2
	v_lshlrev_b32_e32 v2, 3, v0
	s_waitcnt lgkmcnt(0)
	s_add_u32 s0, s0, s4
	s_addc_u32 s1, s1, s5
	global_load_dwordx2 v[0:1], v2, s[0:1]
	s_add_u32 s0, s2, s4
	s_addc_u32 s1, s3, s5
	s_barrier
	s_waitcnt vmcnt(0)
	v_add_u32_e32 v0, 0x29a, v0
	v_mul_lo_u32 v0, v0, v0
	v_mul_lo_u32 v0, v0, v1
	;; [unrolled: 1-line block ×28, first 2 shown]
	v_add_u32_e32 v3, 0x29a, v1
	v_mul_lo_u32 v1, v0, v1
	v_mul_lo_u32 v0, v1, v0
	;; [unrolled: 1-line block ×32, first 2 shown]
	global_store_dwordx2 v2, v[0:1], s[0:1]
	s_endpgm
	.section	.rodata,"a",@progbits
	.p2align	6, 0x0
	.amdhsa_kernel _Z16operation_kernelIiLj256ELj2EL23memory_operation_method2E9operationIL16kernel_operation2EiLj2ELj256EEEvPT_S5_T3_
		.amdhsa_group_segment_fixed_size 0
		.amdhsa_private_segment_fixed_size 0
		.amdhsa_kernarg_size 20
		.amdhsa_user_sgpr_count 6
		.amdhsa_user_sgpr_private_segment_buffer 1
		.amdhsa_user_sgpr_dispatch_ptr 0
		.amdhsa_user_sgpr_queue_ptr 0
		.amdhsa_user_sgpr_kernarg_segment_ptr 1
		.amdhsa_user_sgpr_dispatch_id 0
		.amdhsa_user_sgpr_flat_scratch_init 0
		.amdhsa_user_sgpr_kernarg_preload_length 0
		.amdhsa_user_sgpr_kernarg_preload_offset 0
		.amdhsa_user_sgpr_private_segment_size 0
		.amdhsa_uses_dynamic_stack 0
		.amdhsa_system_sgpr_private_segment_wavefront_offset 0
		.amdhsa_system_sgpr_workgroup_id_x 1
		.amdhsa_system_sgpr_workgroup_id_y 0
		.amdhsa_system_sgpr_workgroup_id_z 0
		.amdhsa_system_sgpr_workgroup_info 0
		.amdhsa_system_vgpr_workitem_id 0
		.amdhsa_next_free_vgpr 5
		.amdhsa_next_free_sgpr 7
		.amdhsa_accum_offset 8
		.amdhsa_reserve_vcc 0
		.amdhsa_reserve_flat_scratch 0
		.amdhsa_float_round_mode_32 0
		.amdhsa_float_round_mode_16_64 0
		.amdhsa_float_denorm_mode_32 3
		.amdhsa_float_denorm_mode_16_64 3
		.amdhsa_dx10_clamp 1
		.amdhsa_ieee_mode 1
		.amdhsa_fp16_overflow 0
		.amdhsa_tg_split 0
		.amdhsa_exception_fp_ieee_invalid_op 0
		.amdhsa_exception_fp_denorm_src 0
		.amdhsa_exception_fp_ieee_div_zero 0
		.amdhsa_exception_fp_ieee_overflow 0
		.amdhsa_exception_fp_ieee_underflow 0
		.amdhsa_exception_fp_ieee_inexact 0
		.amdhsa_exception_int_div_zero 0
	.end_amdhsa_kernel
	.section	.text._Z16operation_kernelIiLj256ELj2EL23memory_operation_method2E9operationIL16kernel_operation2EiLj2ELj256EEEvPT_S5_T3_,"axG",@progbits,_Z16operation_kernelIiLj256ELj2EL23memory_operation_method2E9operationIL16kernel_operation2EiLj2ELj256EEEvPT_S5_T3_,comdat
.Lfunc_end49:
	.size	_Z16operation_kernelIiLj256ELj2EL23memory_operation_method2E9operationIL16kernel_operation2EiLj2ELj256EEEvPT_S5_T3_, .Lfunc_end49-_Z16operation_kernelIiLj256ELj2EL23memory_operation_method2E9operationIL16kernel_operation2EiLj2ELj256EEEvPT_S5_T3_
                                        ; -- End function
	.section	.AMDGPU.csdata,"",@progbits
; Kernel info:
; codeLenInByte = 568
; NumSgprs: 11
; NumVgprs: 5
; NumAgprs: 0
; TotalNumVgprs: 5
; ScratchSize: 0
; MemoryBound: 0
; FloatMode: 240
; IeeeMode: 1
; LDSByteSize: 0 bytes/workgroup (compile time only)
; SGPRBlocks: 1
; VGPRBlocks: 0
; NumSGPRsForWavesPerEU: 11
; NumVGPRsForWavesPerEU: 5
; AccumOffset: 8
; Occupancy: 8
; WaveLimiterHint : 0
; COMPUTE_PGM_RSRC2:SCRATCH_EN: 0
; COMPUTE_PGM_RSRC2:USER_SGPR: 6
; COMPUTE_PGM_RSRC2:TRAP_HANDLER: 0
; COMPUTE_PGM_RSRC2:TGID_X_EN: 1
; COMPUTE_PGM_RSRC2:TGID_Y_EN: 0
; COMPUTE_PGM_RSRC2:TGID_Z_EN: 0
; COMPUTE_PGM_RSRC2:TIDIG_COMP_CNT: 0
; COMPUTE_PGM_RSRC3_GFX90A:ACCUM_OFFSET: 1
; COMPUTE_PGM_RSRC3_GFX90A:TG_SPLIT: 0
	.section	.text._Z16operation_kernelIiLj256ELj4EL23memory_operation_method2E9operationIL16kernel_operation2EiLj4ELj256EEEvPT_S5_T3_,"axG",@progbits,_Z16operation_kernelIiLj256ELj4EL23memory_operation_method2E9operationIL16kernel_operation2EiLj4ELj256EEEvPT_S5_T3_,comdat
	.protected	_Z16operation_kernelIiLj256ELj4EL23memory_operation_method2E9operationIL16kernel_operation2EiLj4ELj256EEEvPT_S5_T3_ ; -- Begin function _Z16operation_kernelIiLj256ELj4EL23memory_operation_method2E9operationIL16kernel_operation2EiLj4ELj256EEEvPT_S5_T3_
	.globl	_Z16operation_kernelIiLj256ELj4EL23memory_operation_method2E9operationIL16kernel_operation2EiLj4ELj256EEEvPT_S5_T3_
	.p2align	8
	.type	_Z16operation_kernelIiLj256ELj4EL23memory_operation_method2E9operationIL16kernel_operation2EiLj4ELj256EEEvPT_S5_T3_,@function
_Z16operation_kernelIiLj256ELj4EL23memory_operation_method2E9operationIL16kernel_operation2EiLj4ELj256EEEvPT_S5_T3_: ; @_Z16operation_kernelIiLj256ELj4EL23memory_operation_method2E9operationIL16kernel_operation2EiLj4ELj256EEEvPT_S5_T3_
; %bb.0:
	s_load_dwordx4 s[0:3], s[4:5], 0x0
	s_lshl_b32 s4, s6, 10
	s_mov_b32 s5, 0
	s_lshl_b64 s[4:5], s[4:5], 2
	v_lshlrev_b32_e32 v6, 4, v0
	s_waitcnt lgkmcnt(0)
	s_add_u32 s0, s0, s4
	s_addc_u32 s1, s1, s5
	global_load_dwordx4 v[0:3], v6, s[0:1]
	s_movk_i32 s1, 0x29a
	s_add_u32 s0, s2, s4
	s_barrier
	s_waitcnt vmcnt(0)
	v_add_u32_e32 v0, 0x29a, v0
	v_mul_lo_u32 v4, v3, v2
	v_mul_lo_u32 v7, v4, v0
	;; [unrolled: 1-line block ×17, first 2 shown]
	v_add_u32_e32 v5, 0x29a, v1
	v_mul_lo_u32 v1, v0, v1
	v_mul_lo_u32 v0, v1, v0
	;; [unrolled: 1-line block ×19, first 2 shown]
	v_add_u32_e32 v2, 0x29a, v2
	v_mul_lo_u32 v7, v1, v0
	v_mul_lo_u32 v8, v7, v2
	;; [unrolled: 1-line block ×4, first 2 shown]
	v_mad_u64_u32 v[4:5], s[6:7], v7, s1, v[2:3]
	v_mul_lo_u32 v3, v3, v8
	v_mul_lo_u32 v5, v2, v3
	;; [unrolled: 1-line block ×29, first 2 shown]
	s_addc_u32 s1, s3, s5
	global_store_dwordx4 v6, v[0:3], s[0:1]
	s_endpgm
	.section	.rodata,"a",@progbits
	.p2align	6, 0x0
	.amdhsa_kernel _Z16operation_kernelIiLj256ELj4EL23memory_operation_method2E9operationIL16kernel_operation2EiLj4ELj256EEEvPT_S5_T3_
		.amdhsa_group_segment_fixed_size 0
		.amdhsa_private_segment_fixed_size 0
		.amdhsa_kernarg_size 20
		.amdhsa_user_sgpr_count 6
		.amdhsa_user_sgpr_private_segment_buffer 1
		.amdhsa_user_sgpr_dispatch_ptr 0
		.amdhsa_user_sgpr_queue_ptr 0
		.amdhsa_user_sgpr_kernarg_segment_ptr 1
		.amdhsa_user_sgpr_dispatch_id 0
		.amdhsa_user_sgpr_flat_scratch_init 0
		.amdhsa_user_sgpr_kernarg_preload_length 0
		.amdhsa_user_sgpr_kernarg_preload_offset 0
		.amdhsa_user_sgpr_private_segment_size 0
		.amdhsa_uses_dynamic_stack 0
		.amdhsa_system_sgpr_private_segment_wavefront_offset 0
		.amdhsa_system_sgpr_workgroup_id_x 1
		.amdhsa_system_sgpr_workgroup_id_y 0
		.amdhsa_system_sgpr_workgroup_id_z 0
		.amdhsa_system_sgpr_workgroup_info 0
		.amdhsa_system_vgpr_workitem_id 0
		.amdhsa_next_free_vgpr 9
		.amdhsa_next_free_sgpr 8
		.amdhsa_accum_offset 12
		.amdhsa_reserve_vcc 0
		.amdhsa_reserve_flat_scratch 0
		.amdhsa_float_round_mode_32 0
		.amdhsa_float_round_mode_16_64 0
		.amdhsa_float_denorm_mode_32 3
		.amdhsa_float_denorm_mode_16_64 3
		.amdhsa_dx10_clamp 1
		.amdhsa_ieee_mode 1
		.amdhsa_fp16_overflow 0
		.amdhsa_tg_split 0
		.amdhsa_exception_fp_ieee_invalid_op 0
		.amdhsa_exception_fp_denorm_src 0
		.amdhsa_exception_fp_ieee_div_zero 0
		.amdhsa_exception_fp_ieee_overflow 0
		.amdhsa_exception_fp_ieee_underflow 0
		.amdhsa_exception_fp_ieee_inexact 0
		.amdhsa_exception_int_div_zero 0
	.end_amdhsa_kernel
	.section	.text._Z16operation_kernelIiLj256ELj4EL23memory_operation_method2E9operationIL16kernel_operation2EiLj4ELj256EEEvPT_S5_T3_,"axG",@progbits,_Z16operation_kernelIiLj256ELj4EL23memory_operation_method2E9operationIL16kernel_operation2EiLj4ELj256EEEvPT_S5_T3_,comdat
.Lfunc_end50:
	.size	_Z16operation_kernelIiLj256ELj4EL23memory_operation_method2E9operationIL16kernel_operation2EiLj4ELj256EEEvPT_S5_T3_, .Lfunc_end50-_Z16operation_kernelIiLj256ELj4EL23memory_operation_method2E9operationIL16kernel_operation2EiLj4ELj256EEEvPT_S5_T3_
                                        ; -- End function
	.section	.AMDGPU.csdata,"",@progbits
; Kernel info:
; codeLenInByte = 660
; NumSgprs: 12
; NumVgprs: 9
; NumAgprs: 0
; TotalNumVgprs: 9
; ScratchSize: 0
; MemoryBound: 0
; FloatMode: 240
; IeeeMode: 1
; LDSByteSize: 0 bytes/workgroup (compile time only)
; SGPRBlocks: 1
; VGPRBlocks: 1
; NumSGPRsForWavesPerEU: 12
; NumVGPRsForWavesPerEU: 9
; AccumOffset: 12
; Occupancy: 8
; WaveLimiterHint : 0
; COMPUTE_PGM_RSRC2:SCRATCH_EN: 0
; COMPUTE_PGM_RSRC2:USER_SGPR: 6
; COMPUTE_PGM_RSRC2:TRAP_HANDLER: 0
; COMPUTE_PGM_RSRC2:TGID_X_EN: 1
; COMPUTE_PGM_RSRC2:TGID_Y_EN: 0
; COMPUTE_PGM_RSRC2:TGID_Z_EN: 0
; COMPUTE_PGM_RSRC2:TIDIG_COMP_CNT: 0
; COMPUTE_PGM_RSRC3_GFX90A:ACCUM_OFFSET: 2
; COMPUTE_PGM_RSRC3_GFX90A:TG_SPLIT: 0
	.section	.text._Z16operation_kernelIiLj256ELj8EL23memory_operation_method2E9operationIL16kernel_operation2EiLj8ELj256EEEvPT_S5_T3_,"axG",@progbits,_Z16operation_kernelIiLj256ELj8EL23memory_operation_method2E9operationIL16kernel_operation2EiLj8ELj256EEEvPT_S5_T3_,comdat
	.protected	_Z16operation_kernelIiLj256ELj8EL23memory_operation_method2E9operationIL16kernel_operation2EiLj8ELj256EEEvPT_S5_T3_ ; -- Begin function _Z16operation_kernelIiLj256ELj8EL23memory_operation_method2E9operationIL16kernel_operation2EiLj8ELj256EEEvPT_S5_T3_
	.globl	_Z16operation_kernelIiLj256ELj8EL23memory_operation_method2E9operationIL16kernel_operation2EiLj8ELj256EEEvPT_S5_T3_
	.p2align	8
	.type	_Z16operation_kernelIiLj256ELj8EL23memory_operation_method2E9operationIL16kernel_operation2EiLj8ELj256EEEvPT_S5_T3_,@function
_Z16operation_kernelIiLj256ELj8EL23memory_operation_method2E9operationIL16kernel_operation2EiLj8ELj256EEEvPT_S5_T3_: ; @_Z16operation_kernelIiLj256ELj8EL23memory_operation_method2E9operationIL16kernel_operation2EiLj8ELj256EEEvPT_S5_T3_
; %bb.0:
	s_load_dwordx4 s[0:3], s[4:5], 0x0
	s_lshl_b32 s4, s6, 11
	s_mov_b32 s5, 0
	s_lshl_b64 s[4:5], s[4:5], 2
	v_lshlrev_b32_e32 v8, 5, v0
	s_waitcnt lgkmcnt(0)
	s_add_u32 s0, s0, s4
	s_addc_u32 s1, s1, s5
	global_load_dwordx4 v[0:3], v8, s[0:1]
	global_load_dwordx4 v[4:7], v8, s[0:1] offset:16
	s_movk_i32 s6, 0x29a
	s_add_u32 s0, s2, s4
	s_addc_u32 s1, s3, s5
	s_barrier
	s_waitcnt vmcnt(1)
	v_add_u32_e32 v0, 0x29a, v0
	s_waitcnt vmcnt(0)
	v_mul_lo_u32 v9, v7, v6
	v_mul_lo_u32 v13, v9, v0
	;; [unrolled: 1-line block ×8, first 2 shown]
	v_add_u32_e32 v11, 0x29a, v1
	v_mul_lo_u32 v15, v10, v1
	v_mul_lo_u32 v1, v13, v1
	;; [unrolled: 1-line block ×8, first 2 shown]
	v_add_u32_e32 v12, 0x29a, v2
	v_mul_lo_u32 v14, v15, v2
	v_mul_lo_u32 v15, v16, v2
	;; [unrolled: 1-line block ×38, first 2 shown]
	v_add_u32_e32 v3, v3, v12
	v_mul_lo_u32 v2, v15, v2
	v_mul_lo_u32 v3, v3, v2
	;; [unrolled: 1-line block ×9, first 2 shown]
	v_add_u32_e32 v4, v4, v12
	v_mul_lo_u32 v9, v10, v3
	v_mul_lo_u32 v6, v11, v6
	;; [unrolled: 1-line block ×3, first 2 shown]
	v_add_u32_e32 v13, v13, v12
	v_mul_lo_u32 v4, v4, v2
	v_mul_lo_u32 v15, v18, v2
	;; [unrolled: 1-line block ×4, first 2 shown]
	v_add_u32_e32 v6, v6, v12
	v_add_u32_e32 v12, v14, v12
	v_mul_lo_u32 v13, v13, v2
	v_mul_lo_u32 v14, v14, v2
	;; [unrolled: 1-line block ×53, first 2 shown]
	global_store_dwordx4 v8, v[0:3], s[0:1]
	global_store_dwordx4 v8, v[4:7], s[0:1] offset:16
	s_endpgm
	.section	.rodata,"a",@progbits
	.p2align	6, 0x0
	.amdhsa_kernel _Z16operation_kernelIiLj256ELj8EL23memory_operation_method2E9operationIL16kernel_operation2EiLj8ELj256EEEvPT_S5_T3_
		.amdhsa_group_segment_fixed_size 0
		.amdhsa_private_segment_fixed_size 0
		.amdhsa_kernarg_size 20
		.amdhsa_user_sgpr_count 6
		.amdhsa_user_sgpr_private_segment_buffer 1
		.amdhsa_user_sgpr_dispatch_ptr 0
		.amdhsa_user_sgpr_queue_ptr 0
		.amdhsa_user_sgpr_kernarg_segment_ptr 1
		.amdhsa_user_sgpr_dispatch_id 0
		.amdhsa_user_sgpr_flat_scratch_init 0
		.amdhsa_user_sgpr_kernarg_preload_length 0
		.amdhsa_user_sgpr_kernarg_preload_offset 0
		.amdhsa_user_sgpr_private_segment_size 0
		.amdhsa_uses_dynamic_stack 0
		.amdhsa_system_sgpr_private_segment_wavefront_offset 0
		.amdhsa_system_sgpr_workgroup_id_x 1
		.amdhsa_system_sgpr_workgroup_id_y 0
		.amdhsa_system_sgpr_workgroup_id_z 0
		.amdhsa_system_sgpr_workgroup_info 0
		.amdhsa_system_vgpr_workitem_id 0
		.amdhsa_next_free_vgpr 19
		.amdhsa_next_free_sgpr 7
		.amdhsa_accum_offset 20
		.amdhsa_reserve_vcc 0
		.amdhsa_reserve_flat_scratch 0
		.amdhsa_float_round_mode_32 0
		.amdhsa_float_round_mode_16_64 0
		.amdhsa_float_denorm_mode_32 3
		.amdhsa_float_denorm_mode_16_64 3
		.amdhsa_dx10_clamp 1
		.amdhsa_ieee_mode 1
		.amdhsa_fp16_overflow 0
		.amdhsa_tg_split 0
		.amdhsa_exception_fp_ieee_invalid_op 0
		.amdhsa_exception_fp_denorm_src 0
		.amdhsa_exception_fp_ieee_div_zero 0
		.amdhsa_exception_fp_ieee_overflow 0
		.amdhsa_exception_fp_ieee_underflow 0
		.amdhsa_exception_fp_ieee_inexact 0
		.amdhsa_exception_int_div_zero 0
	.end_amdhsa_kernel
	.section	.text._Z16operation_kernelIiLj256ELj8EL23memory_operation_method2E9operationIL16kernel_operation2EiLj8ELj256EEEvPT_S5_T3_,"axG",@progbits,_Z16operation_kernelIiLj256ELj8EL23memory_operation_method2E9operationIL16kernel_operation2EiLj8ELj256EEEvPT_S5_T3_,comdat
.Lfunc_end51:
	.size	_Z16operation_kernelIiLj256ELj8EL23memory_operation_method2E9operationIL16kernel_operation2EiLj8ELj256EEEvPT_S5_T3_, .Lfunc_end51-_Z16operation_kernelIiLj256ELj8EL23memory_operation_method2E9operationIL16kernel_operation2EiLj8ELj256EEEvPT_S5_T3_
                                        ; -- End function
	.section	.AMDGPU.csdata,"",@progbits
; Kernel info:
; codeLenInByte = 1124
; NumSgprs: 11
; NumVgprs: 19
; NumAgprs: 0
; TotalNumVgprs: 19
; ScratchSize: 0
; MemoryBound: 0
; FloatMode: 240
; IeeeMode: 1
; LDSByteSize: 0 bytes/workgroup (compile time only)
; SGPRBlocks: 1
; VGPRBlocks: 2
; NumSGPRsForWavesPerEU: 11
; NumVGPRsForWavesPerEU: 19
; AccumOffset: 20
; Occupancy: 8
; WaveLimiterHint : 0
; COMPUTE_PGM_RSRC2:SCRATCH_EN: 0
; COMPUTE_PGM_RSRC2:USER_SGPR: 6
; COMPUTE_PGM_RSRC2:TRAP_HANDLER: 0
; COMPUTE_PGM_RSRC2:TGID_X_EN: 1
; COMPUTE_PGM_RSRC2:TGID_Y_EN: 0
; COMPUTE_PGM_RSRC2:TGID_Z_EN: 0
; COMPUTE_PGM_RSRC2:TIDIG_COMP_CNT: 0
; COMPUTE_PGM_RSRC3_GFX90A:ACCUM_OFFSET: 4
; COMPUTE_PGM_RSRC3_GFX90A:TG_SPLIT: 0
	.section	.text._Z16operation_kernelIiLj256ELj1EL23memory_operation_method3E9operationIL16kernel_operation2EiLj1ELj256EEEvPT_S5_T3_,"axG",@progbits,_Z16operation_kernelIiLj256ELj1EL23memory_operation_method3E9operationIL16kernel_operation2EiLj1ELj256EEEvPT_S5_T3_,comdat
	.protected	_Z16operation_kernelIiLj256ELj1EL23memory_operation_method3E9operationIL16kernel_operation2EiLj1ELj256EEEvPT_S5_T3_ ; -- Begin function _Z16operation_kernelIiLj256ELj1EL23memory_operation_method3E9operationIL16kernel_operation2EiLj1ELj256EEEvPT_S5_T3_
	.globl	_Z16operation_kernelIiLj256ELj1EL23memory_operation_method3E9operationIL16kernel_operation2EiLj1ELj256EEEvPT_S5_T3_
	.p2align	8
	.type	_Z16operation_kernelIiLj256ELj1EL23memory_operation_method3E9operationIL16kernel_operation2EiLj1ELj256EEEvPT_S5_T3_,@function
_Z16operation_kernelIiLj256ELj1EL23memory_operation_method3E9operationIL16kernel_operation2EiLj1ELj256EEEvPT_S5_T3_: ; @_Z16operation_kernelIiLj256ELj1EL23memory_operation_method3E9operationIL16kernel_operation2EiLj1ELj256EEEvPT_S5_T3_
; %bb.0:
	s_load_dwordx4 s[0:3], s[4:5], 0x0
	s_lshl_b32 s4, s6, 8
	s_mov_b32 s5, 0
	s_lshl_b64 s[4:5], s[4:5], 2
	v_lshlrev_b32_e32 v0, 2, v0
	s_waitcnt lgkmcnt(0)
	s_add_u32 s0, s0, s4
	s_addc_u32 s1, s1, s5
	global_load_dword v1, v0, s[0:1]
	s_add_u32 s0, s2, s4
	s_addc_u32 s1, s3, s5
	s_waitcnt vmcnt(0)
	ds_write_b32 v0, v1
	s_waitcnt lgkmcnt(0)
	s_barrier
	ds_read_b32 v1, v0
	s_waitcnt lgkmcnt(0)
	s_barrier
	v_add_u32_e32 v1, 0x29a, v1
	v_mul_lo_u32 v1, v1, v1
	v_mul_lo_u32 v1, v1, v1
	;; [unrolled: 1-line block ×30, first 2 shown]
	ds_write_b32 v0, v1
	s_waitcnt lgkmcnt(0)
	s_barrier
	ds_read_b32 v1, v0
	s_waitcnt lgkmcnt(0)
	global_store_dword v0, v1, s[0:1]
	s_endpgm
	.section	.rodata,"a",@progbits
	.p2align	6, 0x0
	.amdhsa_kernel _Z16operation_kernelIiLj256ELj1EL23memory_operation_method3E9operationIL16kernel_operation2EiLj1ELj256EEEvPT_S5_T3_
		.amdhsa_group_segment_fixed_size 1024
		.amdhsa_private_segment_fixed_size 0
		.amdhsa_kernarg_size 20
		.amdhsa_user_sgpr_count 6
		.amdhsa_user_sgpr_private_segment_buffer 1
		.amdhsa_user_sgpr_dispatch_ptr 0
		.amdhsa_user_sgpr_queue_ptr 0
		.amdhsa_user_sgpr_kernarg_segment_ptr 1
		.amdhsa_user_sgpr_dispatch_id 0
		.amdhsa_user_sgpr_flat_scratch_init 0
		.amdhsa_user_sgpr_kernarg_preload_length 0
		.amdhsa_user_sgpr_kernarg_preload_offset 0
		.amdhsa_user_sgpr_private_segment_size 0
		.amdhsa_uses_dynamic_stack 0
		.amdhsa_system_sgpr_private_segment_wavefront_offset 0
		.amdhsa_system_sgpr_workgroup_id_x 1
		.amdhsa_system_sgpr_workgroup_id_y 0
		.amdhsa_system_sgpr_workgroup_id_z 0
		.amdhsa_system_sgpr_workgroup_info 0
		.amdhsa_system_vgpr_workitem_id 0
		.amdhsa_next_free_vgpr 2
		.amdhsa_next_free_sgpr 7
		.amdhsa_accum_offset 4
		.amdhsa_reserve_vcc 0
		.amdhsa_reserve_flat_scratch 0
		.amdhsa_float_round_mode_32 0
		.amdhsa_float_round_mode_16_64 0
		.amdhsa_float_denorm_mode_32 3
		.amdhsa_float_denorm_mode_16_64 3
		.amdhsa_dx10_clamp 1
		.amdhsa_ieee_mode 1
		.amdhsa_fp16_overflow 0
		.amdhsa_tg_split 0
		.amdhsa_exception_fp_ieee_invalid_op 0
		.amdhsa_exception_fp_denorm_src 0
		.amdhsa_exception_fp_ieee_div_zero 0
		.amdhsa_exception_fp_ieee_overflow 0
		.amdhsa_exception_fp_ieee_underflow 0
		.amdhsa_exception_fp_ieee_inexact 0
		.amdhsa_exception_int_div_zero 0
	.end_amdhsa_kernel
	.section	.text._Z16operation_kernelIiLj256ELj1EL23memory_operation_method3E9operationIL16kernel_operation2EiLj1ELj256EEEvPT_S5_T3_,"axG",@progbits,_Z16operation_kernelIiLj256ELj1EL23memory_operation_method3E9operationIL16kernel_operation2EiLj1ELj256EEEvPT_S5_T3_,comdat
.Lfunc_end52:
	.size	_Z16operation_kernelIiLj256ELj1EL23memory_operation_method3E9operationIL16kernel_operation2EiLj1ELj256EEEvPT_S5_T3_, .Lfunc_end52-_Z16operation_kernelIiLj256ELj1EL23memory_operation_method3E9operationIL16kernel_operation2EiLj1ELj256EEEvPT_S5_T3_
                                        ; -- End function
	.section	.AMDGPU.csdata,"",@progbits
; Kernel info:
; codeLenInByte = 376
; NumSgprs: 11
; NumVgprs: 2
; NumAgprs: 0
; TotalNumVgprs: 2
; ScratchSize: 0
; MemoryBound: 0
; FloatMode: 240
; IeeeMode: 1
; LDSByteSize: 1024 bytes/workgroup (compile time only)
; SGPRBlocks: 1
; VGPRBlocks: 0
; NumSGPRsForWavesPerEU: 11
; NumVGPRsForWavesPerEU: 2
; AccumOffset: 4
; Occupancy: 8
; WaveLimiterHint : 0
; COMPUTE_PGM_RSRC2:SCRATCH_EN: 0
; COMPUTE_PGM_RSRC2:USER_SGPR: 6
; COMPUTE_PGM_RSRC2:TRAP_HANDLER: 0
; COMPUTE_PGM_RSRC2:TGID_X_EN: 1
; COMPUTE_PGM_RSRC2:TGID_Y_EN: 0
; COMPUTE_PGM_RSRC2:TGID_Z_EN: 0
; COMPUTE_PGM_RSRC2:TIDIG_COMP_CNT: 0
; COMPUTE_PGM_RSRC3_GFX90A:ACCUM_OFFSET: 0
; COMPUTE_PGM_RSRC3_GFX90A:TG_SPLIT: 0
	.section	.text._Z16operation_kernelIiLj256ELj2EL23memory_operation_method3E9operationIL16kernel_operation2EiLj2ELj256EEEvPT_S5_T3_,"axG",@progbits,_Z16operation_kernelIiLj256ELj2EL23memory_operation_method3E9operationIL16kernel_operation2EiLj2ELj256EEEvPT_S5_T3_,comdat
	.protected	_Z16operation_kernelIiLj256ELj2EL23memory_operation_method3E9operationIL16kernel_operation2EiLj2ELj256EEEvPT_S5_T3_ ; -- Begin function _Z16operation_kernelIiLj256ELj2EL23memory_operation_method3E9operationIL16kernel_operation2EiLj2ELj256EEEvPT_S5_T3_
	.globl	_Z16operation_kernelIiLj256ELj2EL23memory_operation_method3E9operationIL16kernel_operation2EiLj2ELj256EEEvPT_S5_T3_
	.p2align	8
	.type	_Z16operation_kernelIiLj256ELj2EL23memory_operation_method3E9operationIL16kernel_operation2EiLj2ELj256EEEvPT_S5_T3_,@function
_Z16operation_kernelIiLj256ELj2EL23memory_operation_method3E9operationIL16kernel_operation2EiLj2ELj256EEEvPT_S5_T3_: ; @_Z16operation_kernelIiLj256ELj2EL23memory_operation_method3E9operationIL16kernel_operation2EiLj2ELj256EEEvPT_S5_T3_
; %bb.0:
	s_load_dwordx4 s[0:3], s[4:5], 0x0
	s_lshl_b32 s4, s6, 9
	s_mov_b32 s5, 0
	s_lshl_b64 s[4:5], s[4:5], 2
	v_lshlrev_b32_e32 v2, 2, v0
	s_waitcnt lgkmcnt(0)
	s_add_u32 s0, s0, s4
	s_addc_u32 s1, s1, s5
	global_load_dword v1, v2, s[0:1]
	global_load_dword v3, v2, s[0:1] offset:1024
	v_lshrrev_b32_e32 v4, 5, v0
	v_or_b32_e32 v5, 0x100, v0
	v_lshlrev_b32_e32 v6, 1, v0
	v_lshrrev_b32_e32 v7, 4, v0
	v_add_lshl_u32 v4, v4, v0, 2
	v_lshrrev_b32_e32 v5, 5, v5
	v_add_lshl_u32 v6, v7, v6, 2
	v_add_lshl_u32 v5, v5, v0, 2
	s_add_u32 s0, s2, s4
	s_addc_u32 s1, s3, s5
	s_waitcnt vmcnt(1)
	ds_write_b32 v4, v1
	s_waitcnt vmcnt(0)
	ds_write_b32 v5, v3 offset:1024
	s_waitcnt lgkmcnt(0)
	s_barrier
	ds_read2_b32 v[0:1], v6 offset1:1
	s_waitcnt lgkmcnt(0)
	s_barrier
	v_add_u32_e32 v0, 0x29a, v0
	v_mul_lo_u32 v0, v0, v0
	v_mul_lo_u32 v0, v0, v1
	;; [unrolled: 1-line block ×28, first 2 shown]
	v_add_u32_e32 v3, 0x29a, v1
	v_mul_lo_u32 v1, v0, v1
	v_mul_lo_u32 v0, v1, v0
	;; [unrolled: 1-line block ×32, first 2 shown]
	ds_write2_b32 v6, v0, v1 offset1:1
	s_waitcnt lgkmcnt(0)
	s_barrier
	ds_read_b32 v0, v4
	ds_read_b32 v1, v5 offset:1024
	s_waitcnt lgkmcnt(1)
	global_store_dword v2, v0, s[0:1]
	s_waitcnt lgkmcnt(0)
	global_store_dword v2, v1, s[0:1] offset:1024
	s_endpgm
	.section	.rodata,"a",@progbits
	.p2align	6, 0x0
	.amdhsa_kernel _Z16operation_kernelIiLj256ELj2EL23memory_operation_method3E9operationIL16kernel_operation2EiLj2ELj256EEEvPT_S5_T3_
		.amdhsa_group_segment_fixed_size 2112
		.amdhsa_private_segment_fixed_size 0
		.amdhsa_kernarg_size 20
		.amdhsa_user_sgpr_count 6
		.amdhsa_user_sgpr_private_segment_buffer 1
		.amdhsa_user_sgpr_dispatch_ptr 0
		.amdhsa_user_sgpr_queue_ptr 0
		.amdhsa_user_sgpr_kernarg_segment_ptr 1
		.amdhsa_user_sgpr_dispatch_id 0
		.amdhsa_user_sgpr_flat_scratch_init 0
		.amdhsa_user_sgpr_kernarg_preload_length 0
		.amdhsa_user_sgpr_kernarg_preload_offset 0
		.amdhsa_user_sgpr_private_segment_size 0
		.amdhsa_uses_dynamic_stack 0
		.amdhsa_system_sgpr_private_segment_wavefront_offset 0
		.amdhsa_system_sgpr_workgroup_id_x 1
		.amdhsa_system_sgpr_workgroup_id_y 0
		.amdhsa_system_sgpr_workgroup_id_z 0
		.amdhsa_system_sgpr_workgroup_info 0
		.amdhsa_system_vgpr_workitem_id 0
		.amdhsa_next_free_vgpr 8
		.amdhsa_next_free_sgpr 7
		.amdhsa_accum_offset 8
		.amdhsa_reserve_vcc 0
		.amdhsa_reserve_flat_scratch 0
		.amdhsa_float_round_mode_32 0
		.amdhsa_float_round_mode_16_64 0
		.amdhsa_float_denorm_mode_32 3
		.amdhsa_float_denorm_mode_16_64 3
		.amdhsa_dx10_clamp 1
		.amdhsa_ieee_mode 1
		.amdhsa_fp16_overflow 0
		.amdhsa_tg_split 0
		.amdhsa_exception_fp_ieee_invalid_op 0
		.amdhsa_exception_fp_denorm_src 0
		.amdhsa_exception_fp_ieee_div_zero 0
		.amdhsa_exception_fp_ieee_overflow 0
		.amdhsa_exception_fp_ieee_underflow 0
		.amdhsa_exception_fp_ieee_inexact 0
		.amdhsa_exception_int_div_zero 0
	.end_amdhsa_kernel
	.section	.text._Z16operation_kernelIiLj256ELj2EL23memory_operation_method3E9operationIL16kernel_operation2EiLj2ELj256EEEvPT_S5_T3_,"axG",@progbits,_Z16operation_kernelIiLj256ELj2EL23memory_operation_method3E9operationIL16kernel_operation2EiLj2ELj256EEEvPT_S5_T3_,comdat
.Lfunc_end53:
	.size	_Z16operation_kernelIiLj256ELj2EL23memory_operation_method3E9operationIL16kernel_operation2EiLj2ELj256EEEvPT_S5_T3_, .Lfunc_end53-_Z16operation_kernelIiLj256ELj2EL23memory_operation_method3E9operationIL16kernel_operation2EiLj2ELj256EEEvPT_S5_T3_
                                        ; -- End function
	.section	.AMDGPU.csdata,"",@progbits
; Kernel info:
; codeLenInByte = 712
; NumSgprs: 11
; NumVgprs: 8
; NumAgprs: 0
; TotalNumVgprs: 8
; ScratchSize: 0
; MemoryBound: 0
; FloatMode: 240
; IeeeMode: 1
; LDSByteSize: 2112 bytes/workgroup (compile time only)
; SGPRBlocks: 1
; VGPRBlocks: 0
; NumSGPRsForWavesPerEU: 11
; NumVGPRsForWavesPerEU: 8
; AccumOffset: 8
; Occupancy: 8
; WaveLimiterHint : 1
; COMPUTE_PGM_RSRC2:SCRATCH_EN: 0
; COMPUTE_PGM_RSRC2:USER_SGPR: 6
; COMPUTE_PGM_RSRC2:TRAP_HANDLER: 0
; COMPUTE_PGM_RSRC2:TGID_X_EN: 1
; COMPUTE_PGM_RSRC2:TGID_Y_EN: 0
; COMPUTE_PGM_RSRC2:TGID_Z_EN: 0
; COMPUTE_PGM_RSRC2:TIDIG_COMP_CNT: 0
; COMPUTE_PGM_RSRC3_GFX90A:ACCUM_OFFSET: 1
; COMPUTE_PGM_RSRC3_GFX90A:TG_SPLIT: 0
	.section	.text._Z16operation_kernelIiLj256ELj4EL23memory_operation_method3E9operationIL16kernel_operation2EiLj4ELj256EEEvPT_S5_T3_,"axG",@progbits,_Z16operation_kernelIiLj256ELj4EL23memory_operation_method3E9operationIL16kernel_operation2EiLj4ELj256EEEvPT_S5_T3_,comdat
	.protected	_Z16operation_kernelIiLj256ELj4EL23memory_operation_method3E9operationIL16kernel_operation2EiLj4ELj256EEEvPT_S5_T3_ ; -- Begin function _Z16operation_kernelIiLj256ELj4EL23memory_operation_method3E9operationIL16kernel_operation2EiLj4ELj256EEEvPT_S5_T3_
	.globl	_Z16operation_kernelIiLj256ELj4EL23memory_operation_method3E9operationIL16kernel_operation2EiLj4ELj256EEEvPT_S5_T3_
	.p2align	8
	.type	_Z16operation_kernelIiLj256ELj4EL23memory_operation_method3E9operationIL16kernel_operation2EiLj4ELj256EEEvPT_S5_T3_,@function
_Z16operation_kernelIiLj256ELj4EL23memory_operation_method3E9operationIL16kernel_operation2EiLj4ELj256EEEvPT_S5_T3_: ; @_Z16operation_kernelIiLj256ELj4EL23memory_operation_method3E9operationIL16kernel_operation2EiLj4ELj256EEEvPT_S5_T3_
; %bb.0:
	s_load_dwordx4 s[0:3], s[4:5], 0x0
	s_lshl_b32 s4, s6, 10
	s_mov_b32 s5, 0
	s_lshl_b64 s[4:5], s[4:5], 2
	v_lshlrev_b32_e32 v4, 2, v0
	s_waitcnt lgkmcnt(0)
	s_add_u32 s0, s0, s4
	s_addc_u32 s1, s1, s5
	global_load_dword v1, v4, s[0:1]
	global_load_dword v2, v4, s[0:1] offset:1024
	global_load_dword v3, v4, s[0:1] offset:2048
	;; [unrolled: 1-line block ×3, first 2 shown]
	v_lshrrev_b32_e32 v6, 5, v0
	v_or_b32_e32 v7, 0x100, v0
	v_or_b32_e32 v8, 0x200, v0
	;; [unrolled: 1-line block ×3, first 2 shown]
	v_lshrrev_b32_e32 v10, 3, v0
	v_add_lshl_u32 v6, v6, v0, 2
	v_lshrrev_b32_e32 v7, 5, v7
	v_lshrrev_b32_e32 v8, 5, v8
	;; [unrolled: 1-line block ×3, first 2 shown]
	v_add_lshl_u32 v10, v10, v4, 2
	v_add_lshl_u32 v7, v7, v0, 2
	;; [unrolled: 1-line block ×4, first 2 shown]
	s_movk_i32 s1, 0x29a
	s_add_u32 s0, s2, s4
	s_waitcnt vmcnt(3)
	ds_write_b32 v6, v1
	s_waitcnt vmcnt(2)
	ds_write_b32 v7, v2 offset:1024
	s_waitcnt vmcnt(1)
	ds_write_b32 v8, v3 offset:2048
	s_waitcnt vmcnt(0)
	ds_write_b32 v9, v5 offset:3072
	s_waitcnt lgkmcnt(0)
	s_barrier
	ds_read2_b32 v[0:1], v10 offset1:1
	ds_read2_b32 v[2:3], v10 offset0:2 offset1:3
	s_waitcnt lgkmcnt(0)
	s_barrier
	v_add_u32_e32 v0, 0x29a, v0
	v_mul_lo_u32 v5, v3, v2
	v_mul_lo_u32 v12, v5, v0
	;; [unrolled: 1-line block ×17, first 2 shown]
	v_add_u32_e32 v11, 0x29a, v1
	v_mul_lo_u32 v1, v0, v1
	v_mul_lo_u32 v0, v1, v0
	;; [unrolled: 1-line block ×19, first 2 shown]
	v_add_u32_e32 v2, 0x29a, v2
	v_mul_lo_u32 v5, v1, v0
	ds_write2_b32 v10, v0, v1 offset1:1
	v_mul_lo_u32 v1, v5, v2
	v_mul_lo_u32 v0, v5, v3
	;; [unrolled: 1-line block ×3, first 2 shown]
	v_mad_u64_u32 v[2:3], s[6:7], v5, s1, v[0:1]
	v_mul_lo_u32 v1, v11, v1
	v_mul_lo_u32 v3, v0, v1
	;; [unrolled: 1-line block ×29, first 2 shown]
	ds_write2_b32 v10, v0, v1 offset0:2 offset1:3
	s_waitcnt lgkmcnt(0)
	s_barrier
	ds_read_b32 v0, v6
	ds_read_b32 v1, v7 offset:1024
	ds_read_b32 v2, v8 offset:2048
	;; [unrolled: 1-line block ×3, first 2 shown]
	s_addc_u32 s1, s3, s5
	s_waitcnt lgkmcnt(3)
	global_store_dword v4, v0, s[0:1]
	s_waitcnt lgkmcnt(2)
	global_store_dword v4, v1, s[0:1] offset:1024
	s_waitcnt lgkmcnt(1)
	global_store_dword v4, v2, s[0:1] offset:2048
	;; [unrolled: 2-line block ×3, first 2 shown]
	s_endpgm
	.section	.rodata,"a",@progbits
	.p2align	6, 0x0
	.amdhsa_kernel _Z16operation_kernelIiLj256ELj4EL23memory_operation_method3E9operationIL16kernel_operation2EiLj4ELj256EEEvPT_S5_T3_
		.amdhsa_group_segment_fixed_size 4224
		.amdhsa_private_segment_fixed_size 0
		.amdhsa_kernarg_size 20
		.amdhsa_user_sgpr_count 6
		.amdhsa_user_sgpr_private_segment_buffer 1
		.amdhsa_user_sgpr_dispatch_ptr 0
		.amdhsa_user_sgpr_queue_ptr 0
		.amdhsa_user_sgpr_kernarg_segment_ptr 1
		.amdhsa_user_sgpr_dispatch_id 0
		.amdhsa_user_sgpr_flat_scratch_init 0
		.amdhsa_user_sgpr_kernarg_preload_length 0
		.amdhsa_user_sgpr_kernarg_preload_offset 0
		.amdhsa_user_sgpr_private_segment_size 0
		.amdhsa_uses_dynamic_stack 0
		.amdhsa_system_sgpr_private_segment_wavefront_offset 0
		.amdhsa_system_sgpr_workgroup_id_x 1
		.amdhsa_system_sgpr_workgroup_id_y 0
		.amdhsa_system_sgpr_workgroup_id_z 0
		.amdhsa_system_sgpr_workgroup_info 0
		.amdhsa_system_vgpr_workitem_id 0
		.amdhsa_next_free_vgpr 14
		.amdhsa_next_free_sgpr 8
		.amdhsa_accum_offset 16
		.amdhsa_reserve_vcc 0
		.amdhsa_reserve_flat_scratch 0
		.amdhsa_float_round_mode_32 0
		.amdhsa_float_round_mode_16_64 0
		.amdhsa_float_denorm_mode_32 3
		.amdhsa_float_denorm_mode_16_64 3
		.amdhsa_dx10_clamp 1
		.amdhsa_ieee_mode 1
		.amdhsa_fp16_overflow 0
		.amdhsa_tg_split 0
		.amdhsa_exception_fp_ieee_invalid_op 0
		.amdhsa_exception_fp_denorm_src 0
		.amdhsa_exception_fp_ieee_div_zero 0
		.amdhsa_exception_fp_ieee_overflow 0
		.amdhsa_exception_fp_ieee_underflow 0
		.amdhsa_exception_fp_ieee_inexact 0
		.amdhsa_exception_int_div_zero 0
	.end_amdhsa_kernel
	.section	.text._Z16operation_kernelIiLj256ELj4EL23memory_operation_method3E9operationIL16kernel_operation2EiLj4ELj256EEEvPT_S5_T3_,"axG",@progbits,_Z16operation_kernelIiLj256ELj4EL23memory_operation_method3E9operationIL16kernel_operation2EiLj4ELj256EEEvPT_S5_T3_,comdat
.Lfunc_end54:
	.size	_Z16operation_kernelIiLj256ELj4EL23memory_operation_method3E9operationIL16kernel_operation2EiLj4ELj256EEEvPT_S5_T3_, .Lfunc_end54-_Z16operation_kernelIiLj256ELj4EL23memory_operation_method3E9operationIL16kernel_operation2EiLj4ELj256EEEvPT_S5_T3_
                                        ; -- End function
	.section	.AMDGPU.csdata,"",@progbits
; Kernel info:
; codeLenInByte = 936
; NumSgprs: 12
; NumVgprs: 14
; NumAgprs: 0
; TotalNumVgprs: 14
; ScratchSize: 0
; MemoryBound: 0
; FloatMode: 240
; IeeeMode: 1
; LDSByteSize: 4224 bytes/workgroup (compile time only)
; SGPRBlocks: 1
; VGPRBlocks: 1
; NumSGPRsForWavesPerEU: 12
; NumVGPRsForWavesPerEU: 14
; AccumOffset: 16
; Occupancy: 8
; WaveLimiterHint : 1
; COMPUTE_PGM_RSRC2:SCRATCH_EN: 0
; COMPUTE_PGM_RSRC2:USER_SGPR: 6
; COMPUTE_PGM_RSRC2:TRAP_HANDLER: 0
; COMPUTE_PGM_RSRC2:TGID_X_EN: 1
; COMPUTE_PGM_RSRC2:TGID_Y_EN: 0
; COMPUTE_PGM_RSRC2:TGID_Z_EN: 0
; COMPUTE_PGM_RSRC2:TIDIG_COMP_CNT: 0
; COMPUTE_PGM_RSRC3_GFX90A:ACCUM_OFFSET: 3
; COMPUTE_PGM_RSRC3_GFX90A:TG_SPLIT: 0
	.section	.text._Z16operation_kernelIiLj256ELj8EL23memory_operation_method3E9operationIL16kernel_operation2EiLj8ELj256EEEvPT_S5_T3_,"axG",@progbits,_Z16operation_kernelIiLj256ELj8EL23memory_operation_method3E9operationIL16kernel_operation2EiLj8ELj256EEEvPT_S5_T3_,comdat
	.protected	_Z16operation_kernelIiLj256ELj8EL23memory_operation_method3E9operationIL16kernel_operation2EiLj8ELj256EEEvPT_S5_T3_ ; -- Begin function _Z16operation_kernelIiLj256ELj8EL23memory_operation_method3E9operationIL16kernel_operation2EiLj8ELj256EEEvPT_S5_T3_
	.globl	_Z16operation_kernelIiLj256ELj8EL23memory_operation_method3E9operationIL16kernel_operation2EiLj8ELj256EEEvPT_S5_T3_
	.p2align	8
	.type	_Z16operation_kernelIiLj256ELj8EL23memory_operation_method3E9operationIL16kernel_operation2EiLj8ELj256EEEvPT_S5_T3_,@function
_Z16operation_kernelIiLj256ELj8EL23memory_operation_method3E9operationIL16kernel_operation2EiLj8ELj256EEEvPT_S5_T3_: ; @_Z16operation_kernelIiLj256ELj8EL23memory_operation_method3E9operationIL16kernel_operation2EiLj8ELj256EEEvPT_S5_T3_
; %bb.0:
	s_load_dwordx4 s[0:3], s[4:5], 0x0
	s_lshl_b32 s4, s6, 11
	s_mov_b32 s5, 0
	s_lshl_b64 s[4:5], s[4:5], 2
	v_lshlrev_b32_e32 v8, 2, v0
	s_waitcnt lgkmcnt(0)
	s_add_u32 s0, s0, s4
	s_addc_u32 s1, s1, s5
	v_mov_b32_e32 v1, s1
	v_add_co_u32_e32 v2, vcc, s0, v8
	v_addc_co_u32_e32 v1, vcc, 0, v1, vcc
	s_movk_i32 s6, 0x1000
	v_add_co_u32_e32 v2, vcc, s6, v2
	v_addc_co_u32_e32 v3, vcc, 0, v1, vcc
	global_load_dword v1, v8, s[0:1]
	global_load_dword v4, v8, s[0:1] offset:1024
	global_load_dword v5, v8, s[0:1] offset:2048
	;; [unrolled: 1-line block ×3, first 2 shown]
	global_load_dword v7, v[2:3], off
	global_load_dword v9, v[2:3], off offset:1024
	global_load_dword v10, v[2:3], off offset:2048
	;; [unrolled: 1-line block ×3, first 2 shown]
	v_lshrrev_b32_e32 v2, 5, v0
	v_or_b32_e32 v3, 0x100, v0
	v_or_b32_e32 v12, 0x200, v0
	;; [unrolled: 1-line block ×7, first 2 shown]
	v_lshlrev_b32_e32 v18, 3, v0
	v_lshrrev_b32_e32 v19, 2, v0
	v_add_lshl_u32 v20, v2, v0, 2
	v_lshrrev_b32_e32 v2, 5, v3
	v_lshrrev_b32_e32 v3, 5, v12
	;; [unrolled: 1-line block ×7, first 2 shown]
	v_add_lshl_u32 v17, v19, v18, 2
	v_add_lshl_u32 v18, v2, v0, 2
	;; [unrolled: 1-line block ×8, first 2 shown]
	s_movk_i32 s0, 0x29a
	s_waitcnt vmcnt(7)
	ds_write_b32 v20, v1
	s_waitcnt vmcnt(6)
	ds_write_b32 v18, v4 offset:1024
	s_waitcnt vmcnt(5)
	ds_write_b32 v19, v5 offset:2048
	;; [unrolled: 2-line block ×7, first 2 shown]
	s_waitcnt lgkmcnt(0)
	s_barrier
	ds_read2_b32 v[0:1], v17 offset1:1
	ds_read2_b32 v[2:3], v17 offset0:6 offset1:7
	ds_read2_b32 v[4:5], v17 offset0:4 offset1:5
	;; [unrolled: 1-line block ×3, first 2 shown]
	s_waitcnt lgkmcnt(0)
	v_add_u32_e32 v0, 0x29a, v0
	v_mul_lo_u32 v9, v3, v2
	v_mul_lo_u32 v22, v9, v0
	v_mul_lo_u32 v0, v22, v0
	v_mul_lo_u32 v23, v9, v6
	v_mul_lo_u32 v0, v0, v1
	v_mul_lo_u32 v10, v5, v4
	v_mul_lo_u32 v22, v23, v7
	v_mul_lo_u32 v0, v0, v6
	v_add_u32_e32 v11, 0x29a, v1
	v_mul_lo_u32 v24, v10, v1
	v_mul_lo_u32 v1, v22, v1
	v_mul_lo_u32 v0, v0, v7
	v_mul_lo_u32 v1, v1, v4
	v_mul_lo_u32 v0, v0, v4
	v_mul_lo_u32 v25, v10, v7
	v_mul_lo_u32 v1, v1, v5
	v_mul_lo_u32 v0, v0, v5
	;; [unrolled: 9-line block ×3, first 2 shown]
	v_mul_lo_u32 v22, v10, v22
	v_mul_lo_u32 v0, v1, v0
	;; [unrolled: 1-line block ×27, first 2 shown]
	v_add_u32_e32 v7, v7, v21
	v_mul_lo_u32 v24, v9, v24
	v_mul_lo_u32 v11, v23, v11
	;; [unrolled: 1-line block ×11, first 2 shown]
	v_add_u32_e32 v4, v4, v21
	v_mul_lo_u32 v10, v10, v7
	v_mul_lo_u32 v9, v9, v22
	;; [unrolled: 1-line block ×16, first 2 shown]
	v_add_u32_e32 v5, v22, v21
	v_mul_lo_u32 v9, v2, v3
	v_mul_lo_u32 v5, v5, v11
	;; [unrolled: 1-line block ×12, first 2 shown]
	v_add_u32_e32 v2, v2, v21
	v_mul_lo_u32 v3, v6, v3
	v_mul_lo_u32 v5, v9, v5
	;; [unrolled: 1-line block ×13, first 2 shown]
	v_add_u32_e32 v3, v3, v21
	v_mul_lo_u32 v10, v9, v2
	v_mul_lo_u32 v3, v3, v11
	;; [unrolled: 1-line block ×20, first 2 shown]
	s_add_u32 s0, s2, s4
	s_barrier
	s_addc_u32 s1, s3, s5
	ds_write2_b32 v17, v0, v1 offset1:1
	ds_write2_b32 v17, v11, v7 offset0:2 offset1:3
	ds_write2_b32 v17, v4, v5 offset0:4 offset1:5
	;; [unrolled: 1-line block ×3, first 2 shown]
	s_waitcnt lgkmcnt(0)
	s_barrier
	ds_read_b32 v0, v20
	ds_read_b32 v1, v18 offset:1024
	ds_read_b32 v2, v19 offset:2048
	;; [unrolled: 1-line block ×7, first 2 shown]
	v_mov_b32_e32 v9, s1
	v_add_co_u32_e32 v10, vcc, s0, v8
	v_addc_co_u32_e32 v9, vcc, 0, v9, vcc
	s_waitcnt lgkmcnt(7)
	global_store_dword v8, v0, s[0:1]
	s_waitcnt lgkmcnt(6)
	global_store_dword v8, v1, s[0:1] offset:1024
	s_waitcnt lgkmcnt(5)
	global_store_dword v8, v2, s[0:1] offset:2048
	;; [unrolled: 2-line block ×3, first 2 shown]
	v_add_co_u32_e32 v0, vcc, 0x1000, v10
	v_addc_co_u32_e32 v1, vcc, 0, v9, vcc
	s_waitcnt lgkmcnt(3)
	global_store_dword v[0:1], v4, off
	s_waitcnt lgkmcnt(2)
	global_store_dword v[0:1], v5, off offset:1024
	s_waitcnt lgkmcnt(1)
	global_store_dword v[0:1], v6, off offset:2048
	;; [unrolled: 2-line block ×3, first 2 shown]
	s_endpgm
	.section	.rodata,"a",@progbits
	.p2align	6, 0x0
	.amdhsa_kernel _Z16operation_kernelIiLj256ELj8EL23memory_operation_method3E9operationIL16kernel_operation2EiLj8ELj256EEEvPT_S5_T3_
		.amdhsa_group_segment_fixed_size 8448
		.amdhsa_private_segment_fixed_size 0
		.amdhsa_kernarg_size 20
		.amdhsa_user_sgpr_count 6
		.amdhsa_user_sgpr_private_segment_buffer 1
		.amdhsa_user_sgpr_dispatch_ptr 0
		.amdhsa_user_sgpr_queue_ptr 0
		.amdhsa_user_sgpr_kernarg_segment_ptr 1
		.amdhsa_user_sgpr_dispatch_id 0
		.amdhsa_user_sgpr_flat_scratch_init 0
		.amdhsa_user_sgpr_kernarg_preload_length 0
		.amdhsa_user_sgpr_kernarg_preload_offset 0
		.amdhsa_user_sgpr_private_segment_size 0
		.amdhsa_uses_dynamic_stack 0
		.amdhsa_system_sgpr_private_segment_wavefront_offset 0
		.amdhsa_system_sgpr_workgroup_id_x 1
		.amdhsa_system_sgpr_workgroup_id_y 0
		.amdhsa_system_sgpr_workgroup_id_z 0
		.amdhsa_system_sgpr_workgroup_info 0
		.amdhsa_system_vgpr_workitem_id 0
		.amdhsa_next_free_vgpr 27
		.amdhsa_next_free_sgpr 7
		.amdhsa_accum_offset 28
		.amdhsa_reserve_vcc 1
		.amdhsa_reserve_flat_scratch 0
		.amdhsa_float_round_mode_32 0
		.amdhsa_float_round_mode_16_64 0
		.amdhsa_float_denorm_mode_32 3
		.amdhsa_float_denorm_mode_16_64 3
		.amdhsa_dx10_clamp 1
		.amdhsa_ieee_mode 1
		.amdhsa_fp16_overflow 0
		.amdhsa_tg_split 0
		.amdhsa_exception_fp_ieee_invalid_op 0
		.amdhsa_exception_fp_denorm_src 0
		.amdhsa_exception_fp_ieee_div_zero 0
		.amdhsa_exception_fp_ieee_overflow 0
		.amdhsa_exception_fp_ieee_underflow 0
		.amdhsa_exception_fp_ieee_inexact 0
		.amdhsa_exception_int_div_zero 0
	.end_amdhsa_kernel
	.section	.text._Z16operation_kernelIiLj256ELj8EL23memory_operation_method3E9operationIL16kernel_operation2EiLj8ELj256EEEvPT_S5_T3_,"axG",@progbits,_Z16operation_kernelIiLj256ELj8EL23memory_operation_method3E9operationIL16kernel_operation2EiLj8ELj256EEEvPT_S5_T3_,comdat
.Lfunc_end55:
	.size	_Z16operation_kernelIiLj256ELj8EL23memory_operation_method3E9operationIL16kernel_operation2EiLj8ELj256EEEvPT_S5_T3_, .Lfunc_end55-_Z16operation_kernelIiLj256ELj8EL23memory_operation_method3E9operationIL16kernel_operation2EiLj8ELj256EEEvPT_S5_T3_
                                        ; -- End function
	.section	.AMDGPU.csdata,"",@progbits
; Kernel info:
; codeLenInByte = 1704
; NumSgprs: 11
; NumVgprs: 27
; NumAgprs: 0
; TotalNumVgprs: 27
; ScratchSize: 0
; MemoryBound: 0
; FloatMode: 240
; IeeeMode: 1
; LDSByteSize: 8448 bytes/workgroup (compile time only)
; SGPRBlocks: 1
; VGPRBlocks: 3
; NumSGPRsForWavesPerEU: 11
; NumVGPRsForWavesPerEU: 27
; AccumOffset: 28
; Occupancy: 7
; WaveLimiterHint : 1
; COMPUTE_PGM_RSRC2:SCRATCH_EN: 0
; COMPUTE_PGM_RSRC2:USER_SGPR: 6
; COMPUTE_PGM_RSRC2:TRAP_HANDLER: 0
; COMPUTE_PGM_RSRC2:TGID_X_EN: 1
; COMPUTE_PGM_RSRC2:TGID_Y_EN: 0
; COMPUTE_PGM_RSRC2:TGID_Z_EN: 0
; COMPUTE_PGM_RSRC2:TIDIG_COMP_CNT: 0
; COMPUTE_PGM_RSRC3_GFX90A:ACCUM_OFFSET: 6
; COMPUTE_PGM_RSRC3_GFX90A:TG_SPLIT: 0
	.section	.text._Z16operation_kernelIiLj256ELj1EL23memory_operation_method4E9operationIL16kernel_operation2EiLj1ELj256EEEvPT_S5_T3_,"axG",@progbits,_Z16operation_kernelIiLj256ELj1EL23memory_operation_method4E9operationIL16kernel_operation2EiLj1ELj256EEEvPT_S5_T3_,comdat
	.protected	_Z16operation_kernelIiLj256ELj1EL23memory_operation_method4E9operationIL16kernel_operation2EiLj1ELj256EEEvPT_S5_T3_ ; -- Begin function _Z16operation_kernelIiLj256ELj1EL23memory_operation_method4E9operationIL16kernel_operation2EiLj1ELj256EEEvPT_S5_T3_
	.globl	_Z16operation_kernelIiLj256ELj1EL23memory_operation_method4E9operationIL16kernel_operation2EiLj1ELj256EEEvPT_S5_T3_
	.p2align	8
	.type	_Z16operation_kernelIiLj256ELj1EL23memory_operation_method4E9operationIL16kernel_operation2EiLj1ELj256EEEvPT_S5_T3_,@function
_Z16operation_kernelIiLj256ELj1EL23memory_operation_method4E9operationIL16kernel_operation2EiLj1ELj256EEEvPT_S5_T3_: ; @_Z16operation_kernelIiLj256ELj1EL23memory_operation_method4E9operationIL16kernel_operation2EiLj1ELj256EEEvPT_S5_T3_
; %bb.0:
	s_load_dwordx4 s[0:3], s[4:5], 0x0
	s_lshl_b32 s4, s6, 8
	s_mov_b32 s5, 0
	s_lshl_b64 s[4:5], s[4:5], 2
	v_mbcnt_lo_u32_b32 v1, -1, 0
	s_waitcnt lgkmcnt(0)
	s_add_u32 s0, s0, s4
	v_mbcnt_hi_u32_b32 v2, -1, v1
	s_addc_u32 s1, s1, s5
	v_lshlrev_b32_e32 v4, 2, v2
	v_and_b32_e32 v3, 0xc0, v0
	v_mov_b32_e32 v0, s1
	v_add_co_u32_e32 v1, vcc, s0, v4
	v_addc_co_u32_e32 v5, vcc, 0, v0, vcc
	v_lshlrev_b32_e32 v6, 2, v3
	v_add_co_u32_e32 v0, vcc, v1, v6
	v_addc_co_u32_e32 v1, vcc, 0, v5, vcc
	global_load_dword v0, v[0:1], off
	v_add_lshl_u32 v1, v2, v3, 2
	s_add_u32 s0, s2, s4
	s_addc_u32 s1, s3, s5
	v_mov_b32_e32 v2, s1
	s_waitcnt vmcnt(0)
	ds_write_b32 v1, v0
	; wave barrier
	ds_read_b32 v0, v1
	s_waitcnt lgkmcnt(0)
	s_barrier
	v_add_u32_e32 v0, 0x29a, v0
	v_mul_lo_u32 v0, v0, v0
	v_mul_lo_u32 v0, v0, v0
	;; [unrolled: 1-line block ×30, first 2 shown]
	ds_write_b32 v1, v0
	; wave barrier
	ds_read_b32 v3, v1
	v_add_co_u32_e32 v0, vcc, s0, v4
	v_addc_co_u32_e32 v1, vcc, 0, v2, vcc
	v_add_co_u32_e32 v0, vcc, v0, v6
	v_addc_co_u32_e32 v1, vcc, 0, v1, vcc
	s_waitcnt lgkmcnt(0)
	global_store_dword v[0:1], v3, off
	s_endpgm
	.section	.rodata,"a",@progbits
	.p2align	6, 0x0
	.amdhsa_kernel _Z16operation_kernelIiLj256ELj1EL23memory_operation_method4E9operationIL16kernel_operation2EiLj1ELj256EEEvPT_S5_T3_
		.amdhsa_group_segment_fixed_size 1024
		.amdhsa_private_segment_fixed_size 0
		.amdhsa_kernarg_size 20
		.amdhsa_user_sgpr_count 6
		.amdhsa_user_sgpr_private_segment_buffer 1
		.amdhsa_user_sgpr_dispatch_ptr 0
		.amdhsa_user_sgpr_queue_ptr 0
		.amdhsa_user_sgpr_kernarg_segment_ptr 1
		.amdhsa_user_sgpr_dispatch_id 0
		.amdhsa_user_sgpr_flat_scratch_init 0
		.amdhsa_user_sgpr_kernarg_preload_length 0
		.amdhsa_user_sgpr_kernarg_preload_offset 0
		.amdhsa_user_sgpr_private_segment_size 0
		.amdhsa_uses_dynamic_stack 0
		.amdhsa_system_sgpr_private_segment_wavefront_offset 0
		.amdhsa_system_sgpr_workgroup_id_x 1
		.amdhsa_system_sgpr_workgroup_id_y 0
		.amdhsa_system_sgpr_workgroup_id_z 0
		.amdhsa_system_sgpr_workgroup_info 0
		.amdhsa_system_vgpr_workitem_id 0
		.amdhsa_next_free_vgpr 7
		.amdhsa_next_free_sgpr 7
		.amdhsa_accum_offset 8
		.amdhsa_reserve_vcc 1
		.amdhsa_reserve_flat_scratch 0
		.amdhsa_float_round_mode_32 0
		.amdhsa_float_round_mode_16_64 0
		.amdhsa_float_denorm_mode_32 3
		.amdhsa_float_denorm_mode_16_64 3
		.amdhsa_dx10_clamp 1
		.amdhsa_ieee_mode 1
		.amdhsa_fp16_overflow 0
		.amdhsa_tg_split 0
		.amdhsa_exception_fp_ieee_invalid_op 0
		.amdhsa_exception_fp_denorm_src 0
		.amdhsa_exception_fp_ieee_div_zero 0
		.amdhsa_exception_fp_ieee_overflow 0
		.amdhsa_exception_fp_ieee_underflow 0
		.amdhsa_exception_fp_ieee_inexact 0
		.amdhsa_exception_int_div_zero 0
	.end_amdhsa_kernel
	.section	.text._Z16operation_kernelIiLj256ELj1EL23memory_operation_method4E9operationIL16kernel_operation2EiLj1ELj256EEEvPT_S5_T3_,"axG",@progbits,_Z16operation_kernelIiLj256ELj1EL23memory_operation_method4E9operationIL16kernel_operation2EiLj1ELj256EEEvPT_S5_T3_,comdat
.Lfunc_end56:
	.size	_Z16operation_kernelIiLj256ELj1EL23memory_operation_method4E9operationIL16kernel_operation2EiLj1ELj256EEEvPT_S5_T3_, .Lfunc_end56-_Z16operation_kernelIiLj256ELj1EL23memory_operation_method4E9operationIL16kernel_operation2EiLj1ELj256EEEvPT_S5_T3_
                                        ; -- End function
	.section	.AMDGPU.csdata,"",@progbits
; Kernel info:
; codeLenInByte = 436
; NumSgprs: 11
; NumVgprs: 7
; NumAgprs: 0
; TotalNumVgprs: 7
; ScratchSize: 0
; MemoryBound: 0
; FloatMode: 240
; IeeeMode: 1
; LDSByteSize: 1024 bytes/workgroup (compile time only)
; SGPRBlocks: 1
; VGPRBlocks: 0
; NumSGPRsForWavesPerEU: 11
; NumVGPRsForWavesPerEU: 7
; AccumOffset: 8
; Occupancy: 8
; WaveLimiterHint : 0
; COMPUTE_PGM_RSRC2:SCRATCH_EN: 0
; COMPUTE_PGM_RSRC2:USER_SGPR: 6
; COMPUTE_PGM_RSRC2:TRAP_HANDLER: 0
; COMPUTE_PGM_RSRC2:TGID_X_EN: 1
; COMPUTE_PGM_RSRC2:TGID_Y_EN: 0
; COMPUTE_PGM_RSRC2:TGID_Z_EN: 0
; COMPUTE_PGM_RSRC2:TIDIG_COMP_CNT: 0
; COMPUTE_PGM_RSRC3_GFX90A:ACCUM_OFFSET: 1
; COMPUTE_PGM_RSRC3_GFX90A:TG_SPLIT: 0
	.section	.text._Z16operation_kernelIiLj256ELj2EL23memory_operation_method4E9operationIL16kernel_operation2EiLj2ELj256EEEvPT_S5_T3_,"axG",@progbits,_Z16operation_kernelIiLj256ELj2EL23memory_operation_method4E9operationIL16kernel_operation2EiLj2ELj256EEEvPT_S5_T3_,comdat
	.protected	_Z16operation_kernelIiLj256ELj2EL23memory_operation_method4E9operationIL16kernel_operation2EiLj2ELj256EEEvPT_S5_T3_ ; -- Begin function _Z16operation_kernelIiLj256ELj2EL23memory_operation_method4E9operationIL16kernel_operation2EiLj2ELj256EEEvPT_S5_T3_
	.globl	_Z16operation_kernelIiLj256ELj2EL23memory_operation_method4E9operationIL16kernel_operation2EiLj2ELj256EEEvPT_S5_T3_
	.p2align	8
	.type	_Z16operation_kernelIiLj256ELj2EL23memory_operation_method4E9operationIL16kernel_operation2EiLj2ELj256EEEvPT_S5_T3_,@function
_Z16operation_kernelIiLj256ELj2EL23memory_operation_method4E9operationIL16kernel_operation2EiLj2ELj256EEEvPT_S5_T3_: ; @_Z16operation_kernelIiLj256ELj2EL23memory_operation_method4E9operationIL16kernel_operation2EiLj2ELj256EEEvPT_S5_T3_
; %bb.0:
	s_load_dwordx4 s[0:3], s[4:5], 0x0
	s_lshl_b32 s4, s6, 9
	s_mov_b32 s5, 0
	s_lshl_b64 s[4:5], s[4:5], 2
	v_mbcnt_lo_u32_b32 v1, -1, 0
	s_waitcnt lgkmcnt(0)
	s_add_u32 s0, s0, s4
	v_mbcnt_hi_u32_b32 v1, -1, v1
	s_addc_u32 s1, s1, s5
	v_lshlrev_b32_e32 v2, 1, v0
	v_lshlrev_b32_e32 v5, 2, v1
	v_and_b32_e32 v4, 0x180, v2
	v_mov_b32_e32 v2, s1
	v_add_co_u32_e32 v3, vcc, s0, v5
	v_addc_co_u32_e32 v6, vcc, 0, v2, vcc
	v_lshlrev_b32_e32 v7, 2, v4
	v_add_co_u32_e32 v2, vcc, v3, v7
	v_addc_co_u32_e32 v3, vcc, 0, v6, vcc
	global_load_dword v6, v[2:3], off
	global_load_dword v8, v[2:3], off offset:256
	v_and_b32_e32 v0, 0xc0, v0
	v_add_u32_e32 v0, v1, v0
	v_or_b32_e32 v1, v1, v4
	v_lshlrev_b32_e32 v2, 1, v0
	v_bfe_u32 v0, v0, 4, 27
	v_lshrrev_b32_e32 v3, 5, v1
	v_add_u32_e32 v4, 64, v1
	v_add_lshl_u32 v2, v0, v2, 2
	v_add_lshl_u32 v3, v3, v1, 2
	v_lshrrev_b32_e32 v0, 5, v4
	v_add_lshl_u32 v4, v0, v4, 2
	s_add_u32 s0, s2, s4
	s_addc_u32 s1, s3, s5
	v_mov_b32_e32 v9, s1
	v_add_co_u32_e32 v5, vcc, s0, v5
	s_waitcnt vmcnt(1)
	ds_write_b32 v3, v6
	s_waitcnt vmcnt(0)
	ds_write_b32 v4, v8
	; wave barrier
	ds_read2_b32 v[0:1], v2 offset1:1
	v_addc_co_u32_e32 v6, vcc, 0, v9, vcc
	s_waitcnt lgkmcnt(0)
	s_barrier
	v_add_u32_e32 v0, 0x29a, v0
	v_mul_lo_u32 v0, v0, v0
	v_mul_lo_u32 v0, v0, v1
	;; [unrolled: 1-line block ×28, first 2 shown]
	v_add_u32_e32 v8, 0x29a, v1
	v_mul_lo_u32 v1, v0, v1
	v_mul_lo_u32 v0, v1, v0
	;; [unrolled: 1-line block ×32, first 2 shown]
	ds_write2_b32 v2, v0, v1 offset1:1
	; wave barrier
	ds_read_b32 v2, v3
	ds_read_b32 v3, v4
	v_add_co_u32_e32 v0, vcc, v5, v7
	v_addc_co_u32_e32 v1, vcc, 0, v6, vcc
	s_waitcnt lgkmcnt(1)
	global_store_dword v[0:1], v2, off
	s_waitcnt lgkmcnt(0)
	global_store_dword v[0:1], v3, off offset:256
	s_endpgm
	.section	.rodata,"a",@progbits
	.p2align	6, 0x0
	.amdhsa_kernel _Z16operation_kernelIiLj256ELj2EL23memory_operation_method4E9operationIL16kernel_operation2EiLj2ELj256EEEvPT_S5_T3_
		.amdhsa_group_segment_fixed_size 2112
		.amdhsa_private_segment_fixed_size 0
		.amdhsa_kernarg_size 20
		.amdhsa_user_sgpr_count 6
		.amdhsa_user_sgpr_private_segment_buffer 1
		.amdhsa_user_sgpr_dispatch_ptr 0
		.amdhsa_user_sgpr_queue_ptr 0
		.amdhsa_user_sgpr_kernarg_segment_ptr 1
		.amdhsa_user_sgpr_dispatch_id 0
		.amdhsa_user_sgpr_flat_scratch_init 0
		.amdhsa_user_sgpr_kernarg_preload_length 0
		.amdhsa_user_sgpr_kernarg_preload_offset 0
		.amdhsa_user_sgpr_private_segment_size 0
		.amdhsa_uses_dynamic_stack 0
		.amdhsa_system_sgpr_private_segment_wavefront_offset 0
		.amdhsa_system_sgpr_workgroup_id_x 1
		.amdhsa_system_sgpr_workgroup_id_y 0
		.amdhsa_system_sgpr_workgroup_id_z 0
		.amdhsa_system_sgpr_workgroup_info 0
		.amdhsa_system_vgpr_workitem_id 0
		.amdhsa_next_free_vgpr 10
		.amdhsa_next_free_sgpr 7
		.amdhsa_accum_offset 12
		.amdhsa_reserve_vcc 1
		.amdhsa_reserve_flat_scratch 0
		.amdhsa_float_round_mode_32 0
		.amdhsa_float_round_mode_16_64 0
		.amdhsa_float_denorm_mode_32 3
		.amdhsa_float_denorm_mode_16_64 3
		.amdhsa_dx10_clamp 1
		.amdhsa_ieee_mode 1
		.amdhsa_fp16_overflow 0
		.amdhsa_tg_split 0
		.amdhsa_exception_fp_ieee_invalid_op 0
		.amdhsa_exception_fp_denorm_src 0
		.amdhsa_exception_fp_ieee_div_zero 0
		.amdhsa_exception_fp_ieee_overflow 0
		.amdhsa_exception_fp_ieee_underflow 0
		.amdhsa_exception_fp_ieee_inexact 0
		.amdhsa_exception_int_div_zero 0
	.end_amdhsa_kernel
	.section	.text._Z16operation_kernelIiLj256ELj2EL23memory_operation_method4E9operationIL16kernel_operation2EiLj2ELj256EEEvPT_S5_T3_,"axG",@progbits,_Z16operation_kernelIiLj256ELj2EL23memory_operation_method4E9operationIL16kernel_operation2EiLj2ELj256EEEvPT_S5_T3_,comdat
.Lfunc_end57:
	.size	_Z16operation_kernelIiLj256ELj2EL23memory_operation_method4E9operationIL16kernel_operation2EiLj2ELj256EEEvPT_S5_T3_, .Lfunc_end57-_Z16operation_kernelIiLj256ELj2EL23memory_operation_method4E9operationIL16kernel_operation2EiLj2ELj256EEEvPT_S5_T3_
                                        ; -- End function
	.section	.AMDGPU.csdata,"",@progbits
; Kernel info:
; codeLenInByte = 784
; NumSgprs: 11
; NumVgprs: 10
; NumAgprs: 0
; TotalNumVgprs: 10
; ScratchSize: 0
; MemoryBound: 0
; FloatMode: 240
; IeeeMode: 1
; LDSByteSize: 2112 bytes/workgroup (compile time only)
; SGPRBlocks: 1
; VGPRBlocks: 1
; NumSGPRsForWavesPerEU: 11
; NumVGPRsForWavesPerEU: 10
; AccumOffset: 12
; Occupancy: 8
; WaveLimiterHint : 1
; COMPUTE_PGM_RSRC2:SCRATCH_EN: 0
; COMPUTE_PGM_RSRC2:USER_SGPR: 6
; COMPUTE_PGM_RSRC2:TRAP_HANDLER: 0
; COMPUTE_PGM_RSRC2:TGID_X_EN: 1
; COMPUTE_PGM_RSRC2:TGID_Y_EN: 0
; COMPUTE_PGM_RSRC2:TGID_Z_EN: 0
; COMPUTE_PGM_RSRC2:TIDIG_COMP_CNT: 0
; COMPUTE_PGM_RSRC3_GFX90A:ACCUM_OFFSET: 2
; COMPUTE_PGM_RSRC3_GFX90A:TG_SPLIT: 0
	.section	.text._Z16operation_kernelIiLj256ELj4EL23memory_operation_method4E9operationIL16kernel_operation2EiLj4ELj256EEEvPT_S5_T3_,"axG",@progbits,_Z16operation_kernelIiLj256ELj4EL23memory_operation_method4E9operationIL16kernel_operation2EiLj4ELj256EEEvPT_S5_T3_,comdat
	.protected	_Z16operation_kernelIiLj256ELj4EL23memory_operation_method4E9operationIL16kernel_operation2EiLj4ELj256EEEvPT_S5_T3_ ; -- Begin function _Z16operation_kernelIiLj256ELj4EL23memory_operation_method4E9operationIL16kernel_operation2EiLj4ELj256EEEvPT_S5_T3_
	.globl	_Z16operation_kernelIiLj256ELj4EL23memory_operation_method4E9operationIL16kernel_operation2EiLj4ELj256EEEvPT_S5_T3_
	.p2align	8
	.type	_Z16operation_kernelIiLj256ELj4EL23memory_operation_method4E9operationIL16kernel_operation2EiLj4ELj256EEEvPT_S5_T3_,@function
_Z16operation_kernelIiLj256ELj4EL23memory_operation_method4E9operationIL16kernel_operation2EiLj4ELj256EEEvPT_S5_T3_: ; @_Z16operation_kernelIiLj256ELj4EL23memory_operation_method4E9operationIL16kernel_operation2EiLj4ELj256EEEvPT_S5_T3_
; %bb.0:
	s_load_dwordx4 s[0:3], s[4:5], 0x0
	s_lshl_b32 s4, s6, 10
	s_mov_b32 s5, 0
	s_lshl_b64 s[4:5], s[4:5], 2
	v_mbcnt_lo_u32_b32 v1, -1, 0
	s_waitcnt lgkmcnt(0)
	s_add_u32 s0, s0, s4
	v_mbcnt_hi_u32_b32 v1, -1, v1
	s_addc_u32 s1, s1, s5
	v_lshlrev_b32_e32 v2, 2, v0
	v_lshlrev_b32_e32 v5, 2, v1
	v_and_b32_e32 v4, 0x300, v2
	v_mov_b32_e32 v2, s1
	v_add_co_u32_e32 v3, vcc, s0, v5
	v_addc_co_u32_e32 v6, vcc, 0, v2, vcc
	v_lshlrev_b32_e32 v7, 2, v4
	v_add_co_u32_e32 v2, vcc, v3, v7
	v_addc_co_u32_e32 v3, vcc, 0, v6, vcc
	global_load_dword v6, v[2:3], off
	global_load_dword v8, v[2:3], off offset:256
	global_load_dword v9, v[2:3], off offset:512
	;; [unrolled: 1-line block ×3, first 2 shown]
	v_and_b32_e32 v0, 0xc0, v0
	v_add_u32_e32 v0, v1, v0
	v_or_b32_e32 v1, v1, v4
	v_lshlrev_b32_e32 v2, 2, v0
	v_bfe_u32 v0, v0, 3, 27
	v_add_u32_e32 v4, 64, v1
	s_add_u32 s1, s2, s4
	v_lshrrev_b32_e32 v3, 5, v1
	v_or_b32_e32 v11, 0x80, v1
	v_add_u32_e32 v12, 0xc0, v1
	v_add_lshl_u32 v13, v0, v2, 2
	v_lshrrev_b32_e32 v0, 5, v4
	s_addc_u32 s2, s3, s5
	v_add_lshl_u32 v14, v3, v1, 2
	v_lshrrev_b32_e32 v1, 5, v11
	v_lshrrev_b32_e32 v2, 5, v12
	v_add_lshl_u32 v4, v0, v4, 2
	v_mov_b32_e32 v0, s2
	v_add_co_u32_e32 v5, vcc, s1, v5
	v_add_lshl_u32 v11, v1, v11, 2
	v_add_lshl_u32 v12, v2, v12, 2
	v_addc_co_u32_e32 v15, vcc, 0, v0, vcc
	s_movk_i32 s0, 0x29a
	s_waitcnt vmcnt(3)
	ds_write_b32 v14, v6
	s_waitcnt vmcnt(2)
	ds_write_b32 v4, v8
	;; [unrolled: 2-line block ×4, first 2 shown]
	; wave barrier
	ds_read2_b32 v[0:1], v13 offset1:1
	ds_read2_b32 v[2:3], v13 offset0:2 offset1:3
	s_waitcnt lgkmcnt(0)
	s_barrier
	v_add_u32_e32 v0, 0x29a, v0
	v_mul_lo_u32 v6, v3, v2
	v_mul_lo_u32 v9, v6, v0
	;; [unrolled: 1-line block ×17, first 2 shown]
	v_add_u32_e32 v8, 0x29a, v1
	v_mul_lo_u32 v1, v0, v1
	v_mul_lo_u32 v0, v1, v0
	;; [unrolled: 1-line block ×19, first 2 shown]
	v_add_u32_e32 v2, 0x29a, v2
	v_mul_lo_u32 v6, v1, v0
	ds_write2_b32 v13, v0, v1 offset1:1
	v_mul_lo_u32 v1, v6, v2
	v_mul_lo_u32 v0, v6, v3
	;; [unrolled: 1-line block ×3, first 2 shown]
	v_mad_u64_u32 v[2:3], s[0:1], v6, s0, v[0:1]
	v_mul_lo_u32 v1, v8, v1
	v_mul_lo_u32 v3, v0, v1
	;; [unrolled: 1-line block ×29, first 2 shown]
	ds_write2_b32 v13, v0, v1 offset0:2 offset1:3
	; wave barrier
	ds_read_b32 v2, v14
	ds_read_b32 v3, v4
	ds_read_b32 v4, v11
	ds_read_b32 v6, v12
	v_add_co_u32_e32 v0, vcc, v5, v7
	v_addc_co_u32_e32 v1, vcc, 0, v15, vcc
	s_waitcnt lgkmcnt(3)
	global_store_dword v[0:1], v2, off
	s_waitcnt lgkmcnt(2)
	global_store_dword v[0:1], v3, off offset:256
	s_waitcnt lgkmcnt(1)
	global_store_dword v[0:1], v4, off offset:512
	;; [unrolled: 2-line block ×3, first 2 shown]
	s_endpgm
	.section	.rodata,"a",@progbits
	.p2align	6, 0x0
	.amdhsa_kernel _Z16operation_kernelIiLj256ELj4EL23memory_operation_method4E9operationIL16kernel_operation2EiLj4ELj256EEEvPT_S5_T3_
		.amdhsa_group_segment_fixed_size 4224
		.amdhsa_private_segment_fixed_size 0
		.amdhsa_kernarg_size 20
		.amdhsa_user_sgpr_count 6
		.amdhsa_user_sgpr_private_segment_buffer 1
		.amdhsa_user_sgpr_dispatch_ptr 0
		.amdhsa_user_sgpr_queue_ptr 0
		.amdhsa_user_sgpr_kernarg_segment_ptr 1
		.amdhsa_user_sgpr_dispatch_id 0
		.amdhsa_user_sgpr_flat_scratch_init 0
		.amdhsa_user_sgpr_kernarg_preload_length 0
		.amdhsa_user_sgpr_kernarg_preload_offset 0
		.amdhsa_user_sgpr_private_segment_size 0
		.amdhsa_uses_dynamic_stack 0
		.amdhsa_system_sgpr_private_segment_wavefront_offset 0
		.amdhsa_system_sgpr_workgroup_id_x 1
		.amdhsa_system_sgpr_workgroup_id_y 0
		.amdhsa_system_sgpr_workgroup_id_z 0
		.amdhsa_system_sgpr_workgroup_info 0
		.amdhsa_system_vgpr_workitem_id 0
		.amdhsa_next_free_vgpr 16
		.amdhsa_next_free_sgpr 7
		.amdhsa_accum_offset 16
		.amdhsa_reserve_vcc 1
		.amdhsa_reserve_flat_scratch 0
		.amdhsa_float_round_mode_32 0
		.amdhsa_float_round_mode_16_64 0
		.amdhsa_float_denorm_mode_32 3
		.amdhsa_float_denorm_mode_16_64 3
		.amdhsa_dx10_clamp 1
		.amdhsa_ieee_mode 1
		.amdhsa_fp16_overflow 0
		.amdhsa_tg_split 0
		.amdhsa_exception_fp_ieee_invalid_op 0
		.amdhsa_exception_fp_denorm_src 0
		.amdhsa_exception_fp_ieee_div_zero 0
		.amdhsa_exception_fp_ieee_overflow 0
		.amdhsa_exception_fp_ieee_underflow 0
		.amdhsa_exception_fp_ieee_inexact 0
		.amdhsa_exception_int_div_zero 0
	.end_amdhsa_kernel
	.section	.text._Z16operation_kernelIiLj256ELj4EL23memory_operation_method4E9operationIL16kernel_operation2EiLj4ELj256EEEvPT_S5_T3_,"axG",@progbits,_Z16operation_kernelIiLj256ELj4EL23memory_operation_method4E9operationIL16kernel_operation2EiLj4ELj256EEEvPT_S5_T3_,comdat
.Lfunc_end58:
	.size	_Z16operation_kernelIiLj256ELj4EL23memory_operation_method4E9operationIL16kernel_operation2EiLj4ELj256EEEvPT_S5_T3_, .Lfunc_end58-_Z16operation_kernelIiLj256ELj4EL23memory_operation_method4E9operationIL16kernel_operation2EiLj4ELj256EEEvPT_S5_T3_
                                        ; -- End function
	.section	.AMDGPU.csdata,"",@progbits
; Kernel info:
; codeLenInByte = 1012
; NumSgprs: 11
; NumVgprs: 16
; NumAgprs: 0
; TotalNumVgprs: 16
; ScratchSize: 0
; MemoryBound: 0
; FloatMode: 240
; IeeeMode: 1
; LDSByteSize: 4224 bytes/workgroup (compile time only)
; SGPRBlocks: 1
; VGPRBlocks: 1
; NumSGPRsForWavesPerEU: 11
; NumVGPRsForWavesPerEU: 16
; AccumOffset: 16
; Occupancy: 8
; WaveLimiterHint : 1
; COMPUTE_PGM_RSRC2:SCRATCH_EN: 0
; COMPUTE_PGM_RSRC2:USER_SGPR: 6
; COMPUTE_PGM_RSRC2:TRAP_HANDLER: 0
; COMPUTE_PGM_RSRC2:TGID_X_EN: 1
; COMPUTE_PGM_RSRC2:TGID_Y_EN: 0
; COMPUTE_PGM_RSRC2:TGID_Z_EN: 0
; COMPUTE_PGM_RSRC2:TIDIG_COMP_CNT: 0
; COMPUTE_PGM_RSRC3_GFX90A:ACCUM_OFFSET: 3
; COMPUTE_PGM_RSRC3_GFX90A:TG_SPLIT: 0
	.section	.text._Z16operation_kernelIiLj256ELj8EL23memory_operation_method4E9operationIL16kernel_operation2EiLj8ELj256EEEvPT_S5_T3_,"axG",@progbits,_Z16operation_kernelIiLj256ELj8EL23memory_operation_method4E9operationIL16kernel_operation2EiLj8ELj256EEEvPT_S5_T3_,comdat
	.protected	_Z16operation_kernelIiLj256ELj8EL23memory_operation_method4E9operationIL16kernel_operation2EiLj8ELj256EEEvPT_S5_T3_ ; -- Begin function _Z16operation_kernelIiLj256ELj8EL23memory_operation_method4E9operationIL16kernel_operation2EiLj8ELj256EEEvPT_S5_T3_
	.globl	_Z16operation_kernelIiLj256ELj8EL23memory_operation_method4E9operationIL16kernel_operation2EiLj8ELj256EEEvPT_S5_T3_
	.p2align	8
	.type	_Z16operation_kernelIiLj256ELj8EL23memory_operation_method4E9operationIL16kernel_operation2EiLj8ELj256EEEvPT_S5_T3_,@function
_Z16operation_kernelIiLj256ELj8EL23memory_operation_method4E9operationIL16kernel_operation2EiLj8ELj256EEEvPT_S5_T3_: ; @_Z16operation_kernelIiLj256ELj8EL23memory_operation_method4E9operationIL16kernel_operation2EiLj8ELj256EEEvPT_S5_T3_
; %bb.0:
	s_load_dwordx4 s[0:3], s[4:5], 0x0
	s_lshl_b32 s4, s6, 11
	s_mov_b32 s5, 0
	s_lshl_b64 s[4:5], s[4:5], 2
	v_mbcnt_lo_u32_b32 v1, -1, 0
	s_waitcnt lgkmcnt(0)
	s_add_u32 s0, s0, s4
	v_mbcnt_hi_u32_b32 v1, -1, v1
	s_addc_u32 s1, s1, s5
	v_lshlrev_b32_e32 v2, 3, v0
	v_lshlrev_b32_e32 v8, 2, v1
	v_and_b32_e32 v4, 0x600, v2
	v_mov_b32_e32 v2, s1
	v_add_co_u32_e32 v3, vcc, s0, v8
	v_addc_co_u32_e32 v5, vcc, 0, v2, vcc
	v_lshlrev_b32_e32 v9, 2, v4
	v_add_co_u32_e32 v2, vcc, v3, v9
	v_addc_co_u32_e32 v3, vcc, 0, v5, vcc
	global_load_dword v5, v[2:3], off
	global_load_dword v6, v[2:3], off offset:256
	global_load_dword v7, v[2:3], off offset:512
	;; [unrolled: 1-line block ×7, first 2 shown]
	v_and_b32_e32 v0, 0xc0, v0
	v_add_u32_e32 v0, v1, v0
	v_or_b32_e32 v1, v1, v4
	v_lshlrev_b32_e32 v2, 3, v0
	v_bfe_u32 v0, v0, 2, 27
	v_lshrrev_b32_e32 v3, 5, v1
	v_add_u32_e32 v4, 64, v1
	v_or_b32_e32 v15, 0x80, v1
	v_add_u32_e32 v16, 0xc0, v1
	v_or_b32_e32 v17, 0x100, v1
	v_add_u32_e32 v18, 0x140, v1
	v_or_b32_e32 v19, 0x180, v1
	v_add_u32_e32 v20, 0x1c0, v1
	v_add_lshl_u32 v21, v0, v2, 2
	v_add_lshl_u32 v22, v3, v1, 2
	v_lshrrev_b32_e32 v0, 5, v4
	v_lshrrev_b32_e32 v1, 5, v15
	;; [unrolled: 1-line block ×7, first 2 shown]
	v_add_lshl_u32 v26, v0, v4, 2
	v_add_lshl_u32 v15, v1, v15, 2
	;; [unrolled: 1-line block ×7, first 2 shown]
	s_movk_i32 s0, 0x29a
	s_waitcnt vmcnt(7)
	ds_write_b32 v22, v5
	s_waitcnt vmcnt(6)
	ds_write_b32 v26, v6
	;; [unrolled: 2-line block ×8, first 2 shown]
	; wave barrier
	ds_read2_b32 v[0:1], v21 offset1:1
	ds_read2_b32 v[2:3], v21 offset0:6 offset1:7
	ds_read2_b32 v[4:5], v21 offset0:4 offset1:5
	;; [unrolled: 1-line block ×3, first 2 shown]
	s_waitcnt lgkmcnt(0)
	v_add_u32_e32 v0, 0x29a, v0
	v_mul_lo_u32 v10, v3, v2
	v_mul_lo_u32 v14, v10, v0
	v_mul_lo_u32 v0, v14, v0
	v_mul_lo_u32 v23, v10, v6
	v_mul_lo_u32 v0, v0, v1
	v_mul_lo_u32 v11, v5, v4
	v_mul_lo_u32 v14, v23, v7
	v_mul_lo_u32 v0, v0, v6
	v_add_u32_e32 v12, 0x29a, v1
	v_mul_lo_u32 v24, v11, v1
	v_mul_lo_u32 v1, v14, v1
	v_mul_lo_u32 v0, v0, v7
	v_mul_lo_u32 v1, v1, v4
	v_mul_lo_u32 v0, v0, v4
	v_mul_lo_u32 v25, v11, v7
	v_mul_lo_u32 v1, v1, v5
	v_mul_lo_u32 v0, v0, v5
	;; [unrolled: 9-line block ×3, first 2 shown]
	v_mul_lo_u32 v14, v11, v14
	v_mul_lo_u32 v0, v1, v0
	;; [unrolled: 1-line block ×28, first 2 shown]
	v_add_u32_e32 v7, v7, v13
	v_mul_lo_u32 v14, v10, v14
	v_mul_lo_u32 v7, v7, v12
	;; [unrolled: 1-line block ×12, first 2 shown]
	v_add_u32_e32 v4, v4, v13
	v_mul_lo_u32 v10, v10, v11
	v_mul_lo_u32 v4, v4, v12
	;; [unrolled: 1-line block ×14, first 2 shown]
	v_add_u32_e32 v5, v11, v13
	v_mul_lo_u32 v10, v2, v3
	v_mul_lo_u32 v5, v5, v12
	;; [unrolled: 1-line block ×12, first 2 shown]
	v_add_u32_e32 v2, v2, v13
	v_mul_lo_u32 v3, v6, v3
	v_mul_lo_u32 v5, v10, v5
	;; [unrolled: 1-line block ×13, first 2 shown]
	v_add_u32_e32 v3, v3, v13
	v_mul_lo_u32 v11, v10, v2
	v_mul_lo_u32 v3, v3, v12
	;; [unrolled: 1-line block ×20, first 2 shown]
	s_add_u32 s0, s2, s4
	s_barrier
	s_addc_u32 s1, s3, s5
	ds_write2_b32 v21, v0, v1 offset1:1
	ds_write2_b32 v21, v12, v7 offset0:2 offset1:3
	ds_write2_b32 v21, v4, v5 offset0:4 offset1:5
	;; [unrolled: 1-line block ×3, first 2 shown]
	; wave barrier
	ds_read_b32 v2, v22
	ds_read_b32 v3, v26
	;; [unrolled: 1-line block ×8, first 2 shown]
	v_mov_b32_e32 v0, s1
	v_add_co_u32_e32 v1, vcc, s0, v8
	v_addc_co_u32_e32 v8, vcc, 0, v0, vcc
	v_add_co_u32_e32 v0, vcc, v1, v9
	v_addc_co_u32_e32 v1, vcc, 0, v8, vcc
	s_waitcnt lgkmcnt(7)
	global_store_dword v[0:1], v2, off
	s_waitcnt lgkmcnt(6)
	global_store_dword v[0:1], v3, off offset:256
	s_waitcnt lgkmcnt(5)
	global_store_dword v[0:1], v4, off offset:512
	;; [unrolled: 2-line block ×7, first 2 shown]
	s_endpgm
	.section	.rodata,"a",@progbits
	.p2align	6, 0x0
	.amdhsa_kernel _Z16operation_kernelIiLj256ELj8EL23memory_operation_method4E9operationIL16kernel_operation2EiLj8ELj256EEEvPT_S5_T3_
		.amdhsa_group_segment_fixed_size 8448
		.amdhsa_private_segment_fixed_size 0
		.amdhsa_kernarg_size 20
		.amdhsa_user_sgpr_count 6
		.amdhsa_user_sgpr_private_segment_buffer 1
		.amdhsa_user_sgpr_dispatch_ptr 0
		.amdhsa_user_sgpr_queue_ptr 0
		.amdhsa_user_sgpr_kernarg_segment_ptr 1
		.amdhsa_user_sgpr_dispatch_id 0
		.amdhsa_user_sgpr_flat_scratch_init 0
		.amdhsa_user_sgpr_kernarg_preload_length 0
		.amdhsa_user_sgpr_kernarg_preload_offset 0
		.amdhsa_user_sgpr_private_segment_size 0
		.amdhsa_uses_dynamic_stack 0
		.amdhsa_system_sgpr_private_segment_wavefront_offset 0
		.amdhsa_system_sgpr_workgroup_id_x 1
		.amdhsa_system_sgpr_workgroup_id_y 0
		.amdhsa_system_sgpr_workgroup_id_z 0
		.amdhsa_system_sgpr_workgroup_info 0
		.amdhsa_system_vgpr_workitem_id 0
		.amdhsa_next_free_vgpr 27
		.amdhsa_next_free_sgpr 7
		.amdhsa_accum_offset 28
		.amdhsa_reserve_vcc 1
		.amdhsa_reserve_flat_scratch 0
		.amdhsa_float_round_mode_32 0
		.amdhsa_float_round_mode_16_64 0
		.amdhsa_float_denorm_mode_32 3
		.amdhsa_float_denorm_mode_16_64 3
		.amdhsa_dx10_clamp 1
		.amdhsa_ieee_mode 1
		.amdhsa_fp16_overflow 0
		.amdhsa_tg_split 0
		.amdhsa_exception_fp_ieee_invalid_op 0
		.amdhsa_exception_fp_denorm_src 0
		.amdhsa_exception_fp_ieee_div_zero 0
		.amdhsa_exception_fp_ieee_overflow 0
		.amdhsa_exception_fp_ieee_underflow 0
		.amdhsa_exception_fp_ieee_inexact 0
		.amdhsa_exception_int_div_zero 0
	.end_amdhsa_kernel
	.section	.text._Z16operation_kernelIiLj256ELj8EL23memory_operation_method4E9operationIL16kernel_operation2EiLj8ELj256EEEvPT_S5_T3_,"axG",@progbits,_Z16operation_kernelIiLj256ELj8EL23memory_operation_method4E9operationIL16kernel_operation2EiLj8ELj256EEEvPT_S5_T3_,comdat
.Lfunc_end59:
	.size	_Z16operation_kernelIiLj256ELj8EL23memory_operation_method4E9operationIL16kernel_operation2EiLj8ELj256EEEvPT_S5_T3_, .Lfunc_end59-_Z16operation_kernelIiLj256ELj8EL23memory_operation_method4E9operationIL16kernel_operation2EiLj8ELj256EEEvPT_S5_T3_
                                        ; -- End function
	.section	.AMDGPU.csdata,"",@progbits
; Kernel info:
; codeLenInByte = 1728
; NumSgprs: 11
; NumVgprs: 27
; NumAgprs: 0
; TotalNumVgprs: 27
; ScratchSize: 0
; MemoryBound: 0
; FloatMode: 240
; IeeeMode: 1
; LDSByteSize: 8448 bytes/workgroup (compile time only)
; SGPRBlocks: 1
; VGPRBlocks: 3
; NumSGPRsForWavesPerEU: 11
; NumVGPRsForWavesPerEU: 27
; AccumOffset: 28
; Occupancy: 7
; WaveLimiterHint : 1
; COMPUTE_PGM_RSRC2:SCRATCH_EN: 0
; COMPUTE_PGM_RSRC2:USER_SGPR: 6
; COMPUTE_PGM_RSRC2:TRAP_HANDLER: 0
; COMPUTE_PGM_RSRC2:TGID_X_EN: 1
; COMPUTE_PGM_RSRC2:TGID_Y_EN: 0
; COMPUTE_PGM_RSRC2:TGID_Z_EN: 0
; COMPUTE_PGM_RSRC2:TIDIG_COMP_CNT: 0
; COMPUTE_PGM_RSRC3_GFX90A:ACCUM_OFFSET: 6
; COMPUTE_PGM_RSRC3_GFX90A:TG_SPLIT: 0
	.section	.text._Z16operation_kernelIiLj256ELj1EL23memory_operation_method0E9operationIL16kernel_operation3EiLj1ELj256EEEvPT_S5_T3_,"axG",@progbits,_Z16operation_kernelIiLj256ELj1EL23memory_operation_method0E9operationIL16kernel_operation3EiLj1ELj256EEEvPT_S5_T3_,comdat
	.protected	_Z16operation_kernelIiLj256ELj1EL23memory_operation_method0E9operationIL16kernel_operation3EiLj1ELj256EEEvPT_S5_T3_ ; -- Begin function _Z16operation_kernelIiLj256ELj1EL23memory_operation_method0E9operationIL16kernel_operation3EiLj1ELj256EEEvPT_S5_T3_
	.globl	_Z16operation_kernelIiLj256ELj1EL23memory_operation_method0E9operationIL16kernel_operation3EiLj1ELj256EEEvPT_S5_T3_
	.p2align	8
	.type	_Z16operation_kernelIiLj256ELj1EL23memory_operation_method0E9operationIL16kernel_operation3EiLj1ELj256EEEvPT_S5_T3_,@function
_Z16operation_kernelIiLj256ELj1EL23memory_operation_method0E9operationIL16kernel_operation3EiLj1ELj256EEEvPT_S5_T3_: ; @_Z16operation_kernelIiLj256ELj1EL23memory_operation_method0E9operationIL16kernel_operation3EiLj1ELj256EEEvPT_S5_T3_
; %bb.0:
	s_load_dwordx4 s[0:3], s[4:5], 0x0
	s_load_dword s7, s[4:5], 0x24
	s_lshl_b32 s4, s6, 8
	s_mov_b32 s5, 0
	s_lshl_b64 s[4:5], s[4:5], 2
	s_waitcnt lgkmcnt(0)
	s_add_u32 s0, s0, s4
	s_addc_u32 s1, s1, s5
	v_lshlrev_b32_e32 v2, 2, v0
	global_load_dword v3, v2, s[0:1]
	s_and_b32 s0, s7, 0xffff
	s_mul_i32 s6, s6, s0
	v_add_u32_e32 v0, s6, v0
	v_mov_b32_e32 v1, 0
	v_lshlrev_b64 v[0:1], 2, v[0:1]
	v_mov_b32_e32 v4, s3
	v_add_co_u32_e32 v0, vcc, s2, v0
	v_addc_co_u32_e32 v1, vcc, v4, v1, vcc
	v_mov_b32_e32 v4, 0x29a
	global_atomic_add v[0:1], v4, off
	s_add_u32 s0, s2, s4
	s_addc_u32 s1, s3, s5
	s_barrier
	s_waitcnt vmcnt(1)
	global_store_dword v2, v3, s[0:1]
	s_endpgm
	.section	.rodata,"a",@progbits
	.p2align	6, 0x0
	.amdhsa_kernel _Z16operation_kernelIiLj256ELj1EL23memory_operation_method0E9operationIL16kernel_operation3EiLj1ELj256EEEvPT_S5_T3_
		.amdhsa_group_segment_fixed_size 0
		.amdhsa_private_segment_fixed_size 0
		.amdhsa_kernarg_size 280
		.amdhsa_user_sgpr_count 6
		.amdhsa_user_sgpr_private_segment_buffer 1
		.amdhsa_user_sgpr_dispatch_ptr 0
		.amdhsa_user_sgpr_queue_ptr 0
		.amdhsa_user_sgpr_kernarg_segment_ptr 1
		.amdhsa_user_sgpr_dispatch_id 0
		.amdhsa_user_sgpr_flat_scratch_init 0
		.amdhsa_user_sgpr_kernarg_preload_length 0
		.amdhsa_user_sgpr_kernarg_preload_offset 0
		.amdhsa_user_sgpr_private_segment_size 0
		.amdhsa_uses_dynamic_stack 0
		.amdhsa_system_sgpr_private_segment_wavefront_offset 0
		.amdhsa_system_sgpr_workgroup_id_x 1
		.amdhsa_system_sgpr_workgroup_id_y 0
		.amdhsa_system_sgpr_workgroup_id_z 0
		.amdhsa_system_sgpr_workgroup_info 0
		.amdhsa_system_vgpr_workitem_id 0
		.amdhsa_next_free_vgpr 5
		.amdhsa_next_free_sgpr 8
		.amdhsa_accum_offset 8
		.amdhsa_reserve_vcc 1
		.amdhsa_reserve_flat_scratch 0
		.amdhsa_float_round_mode_32 0
		.amdhsa_float_round_mode_16_64 0
		.amdhsa_float_denorm_mode_32 3
		.amdhsa_float_denorm_mode_16_64 3
		.amdhsa_dx10_clamp 1
		.amdhsa_ieee_mode 1
		.amdhsa_fp16_overflow 0
		.amdhsa_tg_split 0
		.amdhsa_exception_fp_ieee_invalid_op 0
		.amdhsa_exception_fp_denorm_src 0
		.amdhsa_exception_fp_ieee_div_zero 0
		.amdhsa_exception_fp_ieee_overflow 0
		.amdhsa_exception_fp_ieee_underflow 0
		.amdhsa_exception_fp_ieee_inexact 0
		.amdhsa_exception_int_div_zero 0
	.end_amdhsa_kernel
	.section	.text._Z16operation_kernelIiLj256ELj1EL23memory_operation_method0E9operationIL16kernel_operation3EiLj1ELj256EEEvPT_S5_T3_,"axG",@progbits,_Z16operation_kernelIiLj256ELj1EL23memory_operation_method0E9operationIL16kernel_operation3EiLj1ELj256EEEvPT_S5_T3_,comdat
.Lfunc_end60:
	.size	_Z16operation_kernelIiLj256ELj1EL23memory_operation_method0E9operationIL16kernel_operation3EiLj1ELj256EEEvPT_S5_T3_, .Lfunc_end60-_Z16operation_kernelIiLj256ELj1EL23memory_operation_method0E9operationIL16kernel_operation3EiLj1ELj256EEEvPT_S5_T3_
                                        ; -- End function
	.section	.AMDGPU.csdata,"",@progbits
; Kernel info:
; codeLenInByte = 136
; NumSgprs: 12
; NumVgprs: 5
; NumAgprs: 0
; TotalNumVgprs: 5
; ScratchSize: 0
; MemoryBound: 0
; FloatMode: 240
; IeeeMode: 1
; LDSByteSize: 0 bytes/workgroup (compile time only)
; SGPRBlocks: 1
; VGPRBlocks: 0
; NumSGPRsForWavesPerEU: 12
; NumVGPRsForWavesPerEU: 5
; AccumOffset: 8
; Occupancy: 8
; WaveLimiterHint : 0
; COMPUTE_PGM_RSRC2:SCRATCH_EN: 0
; COMPUTE_PGM_RSRC2:USER_SGPR: 6
; COMPUTE_PGM_RSRC2:TRAP_HANDLER: 0
; COMPUTE_PGM_RSRC2:TGID_X_EN: 1
; COMPUTE_PGM_RSRC2:TGID_Y_EN: 0
; COMPUTE_PGM_RSRC2:TGID_Z_EN: 0
; COMPUTE_PGM_RSRC2:TIDIG_COMP_CNT: 0
; COMPUTE_PGM_RSRC3_GFX90A:ACCUM_OFFSET: 1
; COMPUTE_PGM_RSRC3_GFX90A:TG_SPLIT: 0
	.section	.text._Z16operation_kernelIiLj256ELj2EL23memory_operation_method0E9operationIL16kernel_operation3EiLj2ELj256EEEvPT_S5_T3_,"axG",@progbits,_Z16operation_kernelIiLj256ELj2EL23memory_operation_method0E9operationIL16kernel_operation3EiLj2ELj256EEEvPT_S5_T3_,comdat
	.protected	_Z16operation_kernelIiLj256ELj2EL23memory_operation_method0E9operationIL16kernel_operation3EiLj2ELj256EEEvPT_S5_T3_ ; -- Begin function _Z16operation_kernelIiLj256ELj2EL23memory_operation_method0E9operationIL16kernel_operation3EiLj2ELj256EEEvPT_S5_T3_
	.globl	_Z16operation_kernelIiLj256ELj2EL23memory_operation_method0E9operationIL16kernel_operation3EiLj2ELj256EEEvPT_S5_T3_
	.p2align	8
	.type	_Z16operation_kernelIiLj256ELj2EL23memory_operation_method0E9operationIL16kernel_operation3EiLj2ELj256EEEvPT_S5_T3_,@function
_Z16operation_kernelIiLj256ELj2EL23memory_operation_method0E9operationIL16kernel_operation3EiLj2ELj256EEEvPT_S5_T3_: ; @_Z16operation_kernelIiLj256ELj2EL23memory_operation_method0E9operationIL16kernel_operation3EiLj2ELj256EEEvPT_S5_T3_
; %bb.0:
	s_load_dwordx4 s[0:3], s[4:5], 0x0
	s_load_dword s7, s[4:5], 0x24
	s_lshl_b32 s4, s6, 9
	s_mov_b32 s5, 0
	s_lshl_b64 s[4:5], s[4:5], 2
	s_waitcnt lgkmcnt(0)
	s_add_u32 s0, s0, s4
	s_addc_u32 s1, s1, s5
	s_and_b32 s7, s7, 0xffff
	s_mul_i32 s6, s6, s7
	v_lshlrev_b32_e32 v4, 3, v0
	v_add_lshl_u32 v0, s6, v0, 1
	v_mov_b32_e32 v1, 0
	v_lshlrev_b64 v[0:1], 2, v[0:1]
	v_mov_b32_e32 v2, s3
	v_add_co_u32_e32 v0, vcc, s2, v0
	v_addc_co_u32_e32 v1, vcc, v2, v1, vcc
	v_mov_b32_e32 v5, 0x29a
	global_load_dwordx2 v[2:3], v4, s[0:1]
	s_nop 0
	global_atomic_add v[0:1], v5, off
	global_atomic_add v[0:1], v5, off offset:4
	s_add_u32 s0, s2, s4
	s_addc_u32 s1, s3, s5
	s_barrier
	s_waitcnt vmcnt(2)
	global_store_dwordx2 v4, v[2:3], s[0:1]
	s_endpgm
	.section	.rodata,"a",@progbits
	.p2align	6, 0x0
	.amdhsa_kernel _Z16operation_kernelIiLj256ELj2EL23memory_operation_method0E9operationIL16kernel_operation3EiLj2ELj256EEEvPT_S5_T3_
		.amdhsa_group_segment_fixed_size 0
		.amdhsa_private_segment_fixed_size 0
		.amdhsa_kernarg_size 280
		.amdhsa_user_sgpr_count 6
		.amdhsa_user_sgpr_private_segment_buffer 1
		.amdhsa_user_sgpr_dispatch_ptr 0
		.amdhsa_user_sgpr_queue_ptr 0
		.amdhsa_user_sgpr_kernarg_segment_ptr 1
		.amdhsa_user_sgpr_dispatch_id 0
		.amdhsa_user_sgpr_flat_scratch_init 0
		.amdhsa_user_sgpr_kernarg_preload_length 0
		.amdhsa_user_sgpr_kernarg_preload_offset 0
		.amdhsa_user_sgpr_private_segment_size 0
		.amdhsa_uses_dynamic_stack 0
		.amdhsa_system_sgpr_private_segment_wavefront_offset 0
		.amdhsa_system_sgpr_workgroup_id_x 1
		.amdhsa_system_sgpr_workgroup_id_y 0
		.amdhsa_system_sgpr_workgroup_id_z 0
		.amdhsa_system_sgpr_workgroup_info 0
		.amdhsa_system_vgpr_workitem_id 0
		.amdhsa_next_free_vgpr 6
		.amdhsa_next_free_sgpr 8
		.amdhsa_accum_offset 8
		.amdhsa_reserve_vcc 1
		.amdhsa_reserve_flat_scratch 0
		.amdhsa_float_round_mode_32 0
		.amdhsa_float_round_mode_16_64 0
		.amdhsa_float_denorm_mode_32 3
		.amdhsa_float_denorm_mode_16_64 3
		.amdhsa_dx10_clamp 1
		.amdhsa_ieee_mode 1
		.amdhsa_fp16_overflow 0
		.amdhsa_tg_split 0
		.amdhsa_exception_fp_ieee_invalid_op 0
		.amdhsa_exception_fp_denorm_src 0
		.amdhsa_exception_fp_ieee_div_zero 0
		.amdhsa_exception_fp_ieee_overflow 0
		.amdhsa_exception_fp_ieee_underflow 0
		.amdhsa_exception_fp_ieee_inexact 0
		.amdhsa_exception_int_div_zero 0
	.end_amdhsa_kernel
	.section	.text._Z16operation_kernelIiLj256ELj2EL23memory_operation_method0E9operationIL16kernel_operation3EiLj2ELj256EEEvPT_S5_T3_,"axG",@progbits,_Z16operation_kernelIiLj256ELj2EL23memory_operation_method0E9operationIL16kernel_operation3EiLj2ELj256EEEvPT_S5_T3_,comdat
.Lfunc_end61:
	.size	_Z16operation_kernelIiLj256ELj2EL23memory_operation_method0E9operationIL16kernel_operation3EiLj2ELj256EEEvPT_S5_T3_, .Lfunc_end61-_Z16operation_kernelIiLj256ELj2EL23memory_operation_method0E9operationIL16kernel_operation3EiLj2ELj256EEEvPT_S5_T3_
                                        ; -- End function
	.section	.AMDGPU.csdata,"",@progbits
; Kernel info:
; codeLenInByte = 152
; NumSgprs: 12
; NumVgprs: 6
; NumAgprs: 0
; TotalNumVgprs: 6
; ScratchSize: 0
; MemoryBound: 0
; FloatMode: 240
; IeeeMode: 1
; LDSByteSize: 0 bytes/workgroup (compile time only)
; SGPRBlocks: 1
; VGPRBlocks: 0
; NumSGPRsForWavesPerEU: 12
; NumVGPRsForWavesPerEU: 6
; AccumOffset: 8
; Occupancy: 8
; WaveLimiterHint : 0
; COMPUTE_PGM_RSRC2:SCRATCH_EN: 0
; COMPUTE_PGM_RSRC2:USER_SGPR: 6
; COMPUTE_PGM_RSRC2:TRAP_HANDLER: 0
; COMPUTE_PGM_RSRC2:TGID_X_EN: 1
; COMPUTE_PGM_RSRC2:TGID_Y_EN: 0
; COMPUTE_PGM_RSRC2:TGID_Z_EN: 0
; COMPUTE_PGM_RSRC2:TIDIG_COMP_CNT: 0
; COMPUTE_PGM_RSRC3_GFX90A:ACCUM_OFFSET: 1
; COMPUTE_PGM_RSRC3_GFX90A:TG_SPLIT: 0
	.section	.text._Z16operation_kernelIiLj256ELj4EL23memory_operation_method0E9operationIL16kernel_operation3EiLj4ELj256EEEvPT_S5_T3_,"axG",@progbits,_Z16operation_kernelIiLj256ELj4EL23memory_operation_method0E9operationIL16kernel_operation3EiLj4ELj256EEEvPT_S5_T3_,comdat
	.protected	_Z16operation_kernelIiLj256ELj4EL23memory_operation_method0E9operationIL16kernel_operation3EiLj4ELj256EEEvPT_S5_T3_ ; -- Begin function _Z16operation_kernelIiLj256ELj4EL23memory_operation_method0E9operationIL16kernel_operation3EiLj4ELj256EEEvPT_S5_T3_
	.globl	_Z16operation_kernelIiLj256ELj4EL23memory_operation_method0E9operationIL16kernel_operation3EiLj4ELj256EEEvPT_S5_T3_
	.p2align	8
	.type	_Z16operation_kernelIiLj256ELj4EL23memory_operation_method0E9operationIL16kernel_operation3EiLj4ELj256EEEvPT_S5_T3_,@function
_Z16operation_kernelIiLj256ELj4EL23memory_operation_method0E9operationIL16kernel_operation3EiLj4ELj256EEEvPT_S5_T3_: ; @_Z16operation_kernelIiLj256ELj4EL23memory_operation_method0E9operationIL16kernel_operation3EiLj4ELj256EEEvPT_S5_T3_
; %bb.0:
	s_load_dwordx4 s[0:3], s[4:5], 0x0
	s_load_dword s7, s[4:5], 0x24
	s_lshl_b32 s4, s6, 10
	s_mov_b32 s5, 0
	s_lshl_b64 s[4:5], s[4:5], 2
	s_waitcnt lgkmcnt(0)
	s_add_u32 s0, s0, s4
	s_addc_u32 s1, s1, s5
	s_and_b32 s7, s7, 0xffff
	s_mul_i32 s6, s6, s7
	v_lshlrev_b32_e32 v6, 4, v0
	v_add_lshl_u32 v0, s6, v0, 2
	v_mov_b32_e32 v1, 0
	v_lshlrev_b64 v[0:1], 2, v[0:1]
	v_mov_b32_e32 v2, s3
	v_add_co_u32_e32 v4, vcc, s2, v0
	v_addc_co_u32_e32 v5, vcc, v2, v1, vcc
	v_mov_b32_e32 v7, 0x29a
	global_load_dwordx4 v[0:3], v6, s[0:1]
	s_nop 0
	global_atomic_add v[4:5], v7, off
	global_atomic_add v[4:5], v7, off offset:4
	global_atomic_add v[4:5], v7, off offset:8
	;; [unrolled: 1-line block ×3, first 2 shown]
	s_add_u32 s0, s2, s4
	s_addc_u32 s1, s3, s5
	s_barrier
	s_waitcnt vmcnt(4)
	global_store_dwordx4 v6, v[0:3], s[0:1]
	s_endpgm
	.section	.rodata,"a",@progbits
	.p2align	6, 0x0
	.amdhsa_kernel _Z16operation_kernelIiLj256ELj4EL23memory_operation_method0E9operationIL16kernel_operation3EiLj4ELj256EEEvPT_S5_T3_
		.amdhsa_group_segment_fixed_size 0
		.amdhsa_private_segment_fixed_size 0
		.amdhsa_kernarg_size 280
		.amdhsa_user_sgpr_count 6
		.amdhsa_user_sgpr_private_segment_buffer 1
		.amdhsa_user_sgpr_dispatch_ptr 0
		.amdhsa_user_sgpr_queue_ptr 0
		.amdhsa_user_sgpr_kernarg_segment_ptr 1
		.amdhsa_user_sgpr_dispatch_id 0
		.amdhsa_user_sgpr_flat_scratch_init 0
		.amdhsa_user_sgpr_kernarg_preload_length 0
		.amdhsa_user_sgpr_kernarg_preload_offset 0
		.amdhsa_user_sgpr_private_segment_size 0
		.amdhsa_uses_dynamic_stack 0
		.amdhsa_system_sgpr_private_segment_wavefront_offset 0
		.amdhsa_system_sgpr_workgroup_id_x 1
		.amdhsa_system_sgpr_workgroup_id_y 0
		.amdhsa_system_sgpr_workgroup_id_z 0
		.amdhsa_system_sgpr_workgroup_info 0
		.amdhsa_system_vgpr_workitem_id 0
		.amdhsa_next_free_vgpr 8
		.amdhsa_next_free_sgpr 8
		.amdhsa_accum_offset 8
		.amdhsa_reserve_vcc 1
		.amdhsa_reserve_flat_scratch 0
		.amdhsa_float_round_mode_32 0
		.amdhsa_float_round_mode_16_64 0
		.amdhsa_float_denorm_mode_32 3
		.amdhsa_float_denorm_mode_16_64 3
		.amdhsa_dx10_clamp 1
		.amdhsa_ieee_mode 1
		.amdhsa_fp16_overflow 0
		.amdhsa_tg_split 0
		.amdhsa_exception_fp_ieee_invalid_op 0
		.amdhsa_exception_fp_denorm_src 0
		.amdhsa_exception_fp_ieee_div_zero 0
		.amdhsa_exception_fp_ieee_overflow 0
		.amdhsa_exception_fp_ieee_underflow 0
		.amdhsa_exception_fp_ieee_inexact 0
		.amdhsa_exception_int_div_zero 0
	.end_amdhsa_kernel
	.section	.text._Z16operation_kernelIiLj256ELj4EL23memory_operation_method0E9operationIL16kernel_operation3EiLj4ELj256EEEvPT_S5_T3_,"axG",@progbits,_Z16operation_kernelIiLj256ELj4EL23memory_operation_method0E9operationIL16kernel_operation3EiLj4ELj256EEEvPT_S5_T3_,comdat
.Lfunc_end62:
	.size	_Z16operation_kernelIiLj256ELj4EL23memory_operation_method0E9operationIL16kernel_operation3EiLj4ELj256EEEvPT_S5_T3_, .Lfunc_end62-_Z16operation_kernelIiLj256ELj4EL23memory_operation_method0E9operationIL16kernel_operation3EiLj4ELj256EEEvPT_S5_T3_
                                        ; -- End function
	.section	.AMDGPU.csdata,"",@progbits
; Kernel info:
; codeLenInByte = 168
; NumSgprs: 12
; NumVgprs: 8
; NumAgprs: 0
; TotalNumVgprs: 8
; ScratchSize: 0
; MemoryBound: 0
; FloatMode: 240
; IeeeMode: 1
; LDSByteSize: 0 bytes/workgroup (compile time only)
; SGPRBlocks: 1
; VGPRBlocks: 0
; NumSGPRsForWavesPerEU: 12
; NumVGPRsForWavesPerEU: 8
; AccumOffset: 8
; Occupancy: 8
; WaveLimiterHint : 0
; COMPUTE_PGM_RSRC2:SCRATCH_EN: 0
; COMPUTE_PGM_RSRC2:USER_SGPR: 6
; COMPUTE_PGM_RSRC2:TRAP_HANDLER: 0
; COMPUTE_PGM_RSRC2:TGID_X_EN: 1
; COMPUTE_PGM_RSRC2:TGID_Y_EN: 0
; COMPUTE_PGM_RSRC2:TGID_Z_EN: 0
; COMPUTE_PGM_RSRC2:TIDIG_COMP_CNT: 0
; COMPUTE_PGM_RSRC3_GFX90A:ACCUM_OFFSET: 1
; COMPUTE_PGM_RSRC3_GFX90A:TG_SPLIT: 0
	.section	.text._Z16operation_kernelIiLj256ELj8EL23memory_operation_method0E9operationIL16kernel_operation3EiLj8ELj256EEEvPT_S5_T3_,"axG",@progbits,_Z16operation_kernelIiLj256ELj8EL23memory_operation_method0E9operationIL16kernel_operation3EiLj8ELj256EEEvPT_S5_T3_,comdat
	.protected	_Z16operation_kernelIiLj256ELj8EL23memory_operation_method0E9operationIL16kernel_operation3EiLj8ELj256EEEvPT_S5_T3_ ; -- Begin function _Z16operation_kernelIiLj256ELj8EL23memory_operation_method0E9operationIL16kernel_operation3EiLj8ELj256EEEvPT_S5_T3_
	.globl	_Z16operation_kernelIiLj256ELj8EL23memory_operation_method0E9operationIL16kernel_operation3EiLj8ELj256EEEvPT_S5_T3_
	.p2align	8
	.type	_Z16operation_kernelIiLj256ELj8EL23memory_operation_method0E9operationIL16kernel_operation3EiLj8ELj256EEEvPT_S5_T3_,@function
_Z16operation_kernelIiLj256ELj8EL23memory_operation_method0E9operationIL16kernel_operation3EiLj8ELj256EEEvPT_S5_T3_: ; @_Z16operation_kernelIiLj256ELj8EL23memory_operation_method0E9operationIL16kernel_operation3EiLj8ELj256EEEvPT_S5_T3_
; %bb.0:
	s_load_dwordx4 s[0:3], s[4:5], 0x0
	s_load_dword s7, s[4:5], 0x24
	s_lshl_b32 s4, s6, 11
	s_mov_b32 s5, 0
	s_lshl_b64 s[4:5], s[4:5], 2
	s_waitcnt lgkmcnt(0)
	s_add_u32 s0, s0, s4
	s_addc_u32 s1, s1, s5
	s_and_b32 s7, s7, 0xffff
	s_mul_i32 s6, s6, s7
	v_lshlrev_b32_e32 v10, 5, v0
	v_add_lshl_u32 v0, s6, v0, 3
	v_mov_b32_e32 v1, 0
	v_lshlrev_b64 v[0:1], 2, v[0:1]
	v_mov_b32_e32 v2, s3
	v_add_co_u32_e32 v8, vcc, s2, v0
	v_addc_co_u32_e32 v9, vcc, v2, v1, vcc
	v_mov_b32_e32 v11, 0x29a
	global_load_dwordx4 v[0:3], v10, s[0:1] offset:16
	global_load_dwordx4 v[4:7], v10, s[0:1]
	s_nop 0
	global_atomic_add v[8:9], v11, off
	global_atomic_add v[8:9], v11, off offset:4
	global_atomic_add v[8:9], v11, off offset:8
	;; [unrolled: 1-line block ×7, first 2 shown]
	s_add_u32 s0, s2, s4
	s_addc_u32 s1, s3, s5
	s_barrier
	s_waitcnt vmcnt(8)
	global_store_dwordx4 v10, v[4:7], s[0:1]
	global_store_dwordx4 v10, v[0:3], s[0:1] offset:16
	s_endpgm
	.section	.rodata,"a",@progbits
	.p2align	6, 0x0
	.amdhsa_kernel _Z16operation_kernelIiLj256ELj8EL23memory_operation_method0E9operationIL16kernel_operation3EiLj8ELj256EEEvPT_S5_T3_
		.amdhsa_group_segment_fixed_size 0
		.amdhsa_private_segment_fixed_size 0
		.amdhsa_kernarg_size 280
		.amdhsa_user_sgpr_count 6
		.amdhsa_user_sgpr_private_segment_buffer 1
		.amdhsa_user_sgpr_dispatch_ptr 0
		.amdhsa_user_sgpr_queue_ptr 0
		.amdhsa_user_sgpr_kernarg_segment_ptr 1
		.amdhsa_user_sgpr_dispatch_id 0
		.amdhsa_user_sgpr_flat_scratch_init 0
		.amdhsa_user_sgpr_kernarg_preload_length 0
		.amdhsa_user_sgpr_kernarg_preload_offset 0
		.amdhsa_user_sgpr_private_segment_size 0
		.amdhsa_uses_dynamic_stack 0
		.amdhsa_system_sgpr_private_segment_wavefront_offset 0
		.amdhsa_system_sgpr_workgroup_id_x 1
		.amdhsa_system_sgpr_workgroup_id_y 0
		.amdhsa_system_sgpr_workgroup_id_z 0
		.amdhsa_system_sgpr_workgroup_info 0
		.amdhsa_system_vgpr_workitem_id 0
		.amdhsa_next_free_vgpr 12
		.amdhsa_next_free_sgpr 8
		.amdhsa_accum_offset 12
		.amdhsa_reserve_vcc 1
		.amdhsa_reserve_flat_scratch 0
		.amdhsa_float_round_mode_32 0
		.amdhsa_float_round_mode_16_64 0
		.amdhsa_float_denorm_mode_32 3
		.amdhsa_float_denorm_mode_16_64 3
		.amdhsa_dx10_clamp 1
		.amdhsa_ieee_mode 1
		.amdhsa_fp16_overflow 0
		.amdhsa_tg_split 0
		.amdhsa_exception_fp_ieee_invalid_op 0
		.amdhsa_exception_fp_denorm_src 0
		.amdhsa_exception_fp_ieee_div_zero 0
		.amdhsa_exception_fp_ieee_overflow 0
		.amdhsa_exception_fp_ieee_underflow 0
		.amdhsa_exception_fp_ieee_inexact 0
		.amdhsa_exception_int_div_zero 0
	.end_amdhsa_kernel
	.section	.text._Z16operation_kernelIiLj256ELj8EL23memory_operation_method0E9operationIL16kernel_operation3EiLj8ELj256EEEvPT_S5_T3_,"axG",@progbits,_Z16operation_kernelIiLj256ELj8EL23memory_operation_method0E9operationIL16kernel_operation3EiLj8ELj256EEEvPT_S5_T3_,comdat
.Lfunc_end63:
	.size	_Z16operation_kernelIiLj256ELj8EL23memory_operation_method0E9operationIL16kernel_operation3EiLj8ELj256EEEvPT_S5_T3_, .Lfunc_end63-_Z16operation_kernelIiLj256ELj8EL23memory_operation_method0E9operationIL16kernel_operation3EiLj8ELj256EEEvPT_S5_T3_
                                        ; -- End function
	.section	.AMDGPU.csdata,"",@progbits
; Kernel info:
; codeLenInByte = 216
; NumSgprs: 12
; NumVgprs: 12
; NumAgprs: 0
; TotalNumVgprs: 12
; ScratchSize: 0
; MemoryBound: 0
; FloatMode: 240
; IeeeMode: 1
; LDSByteSize: 0 bytes/workgroup (compile time only)
; SGPRBlocks: 1
; VGPRBlocks: 1
; NumSGPRsForWavesPerEU: 12
; NumVGPRsForWavesPerEU: 12
; AccumOffset: 12
; Occupancy: 8
; WaveLimiterHint : 0
; COMPUTE_PGM_RSRC2:SCRATCH_EN: 0
; COMPUTE_PGM_RSRC2:USER_SGPR: 6
; COMPUTE_PGM_RSRC2:TRAP_HANDLER: 0
; COMPUTE_PGM_RSRC2:TGID_X_EN: 1
; COMPUTE_PGM_RSRC2:TGID_Y_EN: 0
; COMPUTE_PGM_RSRC2:TGID_Z_EN: 0
; COMPUTE_PGM_RSRC2:TIDIG_COMP_CNT: 0
; COMPUTE_PGM_RSRC3_GFX90A:ACCUM_OFFSET: 2
; COMPUTE_PGM_RSRC3_GFX90A:TG_SPLIT: 0
	.section	.text._Z16operation_kernelIiLj256ELj1EL23memory_operation_method1E9operationIL16kernel_operation3EiLj1ELj256EEEvPT_S5_T3_,"axG",@progbits,_Z16operation_kernelIiLj256ELj1EL23memory_operation_method1E9operationIL16kernel_operation3EiLj1ELj256EEEvPT_S5_T3_,comdat
	.protected	_Z16operation_kernelIiLj256ELj1EL23memory_operation_method1E9operationIL16kernel_operation3EiLj1ELj256EEEvPT_S5_T3_ ; -- Begin function _Z16operation_kernelIiLj256ELj1EL23memory_operation_method1E9operationIL16kernel_operation3EiLj1ELj256EEEvPT_S5_T3_
	.globl	_Z16operation_kernelIiLj256ELj1EL23memory_operation_method1E9operationIL16kernel_operation3EiLj1ELj256EEEvPT_S5_T3_
	.p2align	8
	.type	_Z16operation_kernelIiLj256ELj1EL23memory_operation_method1E9operationIL16kernel_operation3EiLj1ELj256EEEvPT_S5_T3_,@function
_Z16operation_kernelIiLj256ELj1EL23memory_operation_method1E9operationIL16kernel_operation3EiLj1ELj256EEEvPT_S5_T3_: ; @_Z16operation_kernelIiLj256ELj1EL23memory_operation_method1E9operationIL16kernel_operation3EiLj1ELj256EEEvPT_S5_T3_
; %bb.0:
	s_load_dwordx4 s[0:3], s[4:5], 0x0
	s_load_dword s7, s[4:5], 0x24
	s_lshl_b32 s4, s6, 8
	s_mov_b32 s5, 0
	s_lshl_b64 s[4:5], s[4:5], 2
	s_waitcnt lgkmcnt(0)
	s_add_u32 s0, s0, s4
	s_addc_u32 s1, s1, s5
	v_lshlrev_b32_e32 v2, 2, v0
	global_load_dword v3, v2, s[0:1]
	s_and_b32 s0, s7, 0xffff
	s_mul_i32 s6, s6, s0
	v_add_u32_e32 v0, s6, v0
	v_mov_b32_e32 v1, 0
	v_lshlrev_b64 v[0:1], 2, v[0:1]
	v_mov_b32_e32 v4, s3
	v_add_co_u32_e32 v0, vcc, s2, v0
	v_addc_co_u32_e32 v1, vcc, v4, v1, vcc
	v_mov_b32_e32 v4, 0x29a
	global_atomic_add v[0:1], v4, off
	s_add_u32 s0, s2, s4
	s_addc_u32 s1, s3, s5
	s_barrier
	s_waitcnt vmcnt(1)
	global_store_dword v2, v3, s[0:1]
	s_endpgm
	.section	.rodata,"a",@progbits
	.p2align	6, 0x0
	.amdhsa_kernel _Z16operation_kernelIiLj256ELj1EL23memory_operation_method1E9operationIL16kernel_operation3EiLj1ELj256EEEvPT_S5_T3_
		.amdhsa_group_segment_fixed_size 0
		.amdhsa_private_segment_fixed_size 0
		.amdhsa_kernarg_size 280
		.amdhsa_user_sgpr_count 6
		.amdhsa_user_sgpr_private_segment_buffer 1
		.amdhsa_user_sgpr_dispatch_ptr 0
		.amdhsa_user_sgpr_queue_ptr 0
		.amdhsa_user_sgpr_kernarg_segment_ptr 1
		.amdhsa_user_sgpr_dispatch_id 0
		.amdhsa_user_sgpr_flat_scratch_init 0
		.amdhsa_user_sgpr_kernarg_preload_length 0
		.amdhsa_user_sgpr_kernarg_preload_offset 0
		.amdhsa_user_sgpr_private_segment_size 0
		.amdhsa_uses_dynamic_stack 0
		.amdhsa_system_sgpr_private_segment_wavefront_offset 0
		.amdhsa_system_sgpr_workgroup_id_x 1
		.amdhsa_system_sgpr_workgroup_id_y 0
		.amdhsa_system_sgpr_workgroup_id_z 0
		.amdhsa_system_sgpr_workgroup_info 0
		.amdhsa_system_vgpr_workitem_id 0
		.amdhsa_next_free_vgpr 5
		.amdhsa_next_free_sgpr 8
		.amdhsa_accum_offset 8
		.amdhsa_reserve_vcc 1
		.amdhsa_reserve_flat_scratch 0
		.amdhsa_float_round_mode_32 0
		.amdhsa_float_round_mode_16_64 0
		.amdhsa_float_denorm_mode_32 3
		.amdhsa_float_denorm_mode_16_64 3
		.amdhsa_dx10_clamp 1
		.amdhsa_ieee_mode 1
		.amdhsa_fp16_overflow 0
		.amdhsa_tg_split 0
		.amdhsa_exception_fp_ieee_invalid_op 0
		.amdhsa_exception_fp_denorm_src 0
		.amdhsa_exception_fp_ieee_div_zero 0
		.amdhsa_exception_fp_ieee_overflow 0
		.amdhsa_exception_fp_ieee_underflow 0
		.amdhsa_exception_fp_ieee_inexact 0
		.amdhsa_exception_int_div_zero 0
	.end_amdhsa_kernel
	.section	.text._Z16operation_kernelIiLj256ELj1EL23memory_operation_method1E9operationIL16kernel_operation3EiLj1ELj256EEEvPT_S5_T3_,"axG",@progbits,_Z16operation_kernelIiLj256ELj1EL23memory_operation_method1E9operationIL16kernel_operation3EiLj1ELj256EEEvPT_S5_T3_,comdat
.Lfunc_end64:
	.size	_Z16operation_kernelIiLj256ELj1EL23memory_operation_method1E9operationIL16kernel_operation3EiLj1ELj256EEEvPT_S5_T3_, .Lfunc_end64-_Z16operation_kernelIiLj256ELj1EL23memory_operation_method1E9operationIL16kernel_operation3EiLj1ELj256EEEvPT_S5_T3_
                                        ; -- End function
	.section	.AMDGPU.csdata,"",@progbits
; Kernel info:
; codeLenInByte = 136
; NumSgprs: 12
; NumVgprs: 5
; NumAgprs: 0
; TotalNumVgprs: 5
; ScratchSize: 0
; MemoryBound: 0
; FloatMode: 240
; IeeeMode: 1
; LDSByteSize: 0 bytes/workgroup (compile time only)
; SGPRBlocks: 1
; VGPRBlocks: 0
; NumSGPRsForWavesPerEU: 12
; NumVGPRsForWavesPerEU: 5
; AccumOffset: 8
; Occupancy: 8
; WaveLimiterHint : 0
; COMPUTE_PGM_RSRC2:SCRATCH_EN: 0
; COMPUTE_PGM_RSRC2:USER_SGPR: 6
; COMPUTE_PGM_RSRC2:TRAP_HANDLER: 0
; COMPUTE_PGM_RSRC2:TGID_X_EN: 1
; COMPUTE_PGM_RSRC2:TGID_Y_EN: 0
; COMPUTE_PGM_RSRC2:TGID_Z_EN: 0
; COMPUTE_PGM_RSRC2:TIDIG_COMP_CNT: 0
; COMPUTE_PGM_RSRC3_GFX90A:ACCUM_OFFSET: 1
; COMPUTE_PGM_RSRC3_GFX90A:TG_SPLIT: 0
	.section	.text._Z16operation_kernelIiLj256ELj2EL23memory_operation_method1E9operationIL16kernel_operation3EiLj2ELj256EEEvPT_S5_T3_,"axG",@progbits,_Z16operation_kernelIiLj256ELj2EL23memory_operation_method1E9operationIL16kernel_operation3EiLj2ELj256EEEvPT_S5_T3_,comdat
	.protected	_Z16operation_kernelIiLj256ELj2EL23memory_operation_method1E9operationIL16kernel_operation3EiLj2ELj256EEEvPT_S5_T3_ ; -- Begin function _Z16operation_kernelIiLj256ELj2EL23memory_operation_method1E9operationIL16kernel_operation3EiLj2ELj256EEEvPT_S5_T3_
	.globl	_Z16operation_kernelIiLj256ELj2EL23memory_operation_method1E9operationIL16kernel_operation3EiLj2ELj256EEEvPT_S5_T3_
	.p2align	8
	.type	_Z16operation_kernelIiLj256ELj2EL23memory_operation_method1E9operationIL16kernel_operation3EiLj2ELj256EEEvPT_S5_T3_,@function
_Z16operation_kernelIiLj256ELj2EL23memory_operation_method1E9operationIL16kernel_operation3EiLj2ELj256EEEvPT_S5_T3_: ; @_Z16operation_kernelIiLj256ELj2EL23memory_operation_method1E9operationIL16kernel_operation3EiLj2ELj256EEEvPT_S5_T3_
; %bb.0:
	s_load_dwordx4 s[0:3], s[4:5], 0x0
	s_load_dword s7, s[4:5], 0x24
	s_lshl_b32 s4, s6, 9
	s_mov_b32 s5, 0
	s_lshl_b64 s[4:5], s[4:5], 2
	s_waitcnt lgkmcnt(0)
	s_add_u32 s0, s0, s4
	s_addc_u32 s1, s1, s5
	v_lshlrev_b32_e32 v2, 2, v0
	global_load_dword v3, v2, s[0:1]
	global_load_dword v4, v2, s[0:1] offset:1024
	s_and_b32 s0, s7, 0xffff
	s_mul_i32 s6, s6, s0
	v_add_lshl_u32 v0, s6, v0, 1
	v_mov_b32_e32 v1, 0
	v_lshlrev_b64 v[0:1], 2, v[0:1]
	v_mov_b32_e32 v5, s3
	v_add_co_u32_e32 v0, vcc, s2, v0
	v_addc_co_u32_e32 v1, vcc, v5, v1, vcc
	v_mov_b32_e32 v5, 0x29a
	global_atomic_add v[0:1], v5, off
	global_atomic_add v[0:1], v5, off offset:4
	s_add_u32 s0, s2, s4
	s_addc_u32 s1, s3, s5
	s_barrier
	s_waitcnt vmcnt(3)
	global_store_dword v2, v3, s[0:1]
	s_waitcnt vmcnt(3)
	global_store_dword v2, v4, s[0:1] offset:1024
	s_endpgm
	.section	.rodata,"a",@progbits
	.p2align	6, 0x0
	.amdhsa_kernel _Z16operation_kernelIiLj256ELj2EL23memory_operation_method1E9operationIL16kernel_operation3EiLj2ELj256EEEvPT_S5_T3_
		.amdhsa_group_segment_fixed_size 0
		.amdhsa_private_segment_fixed_size 0
		.amdhsa_kernarg_size 280
		.amdhsa_user_sgpr_count 6
		.amdhsa_user_sgpr_private_segment_buffer 1
		.amdhsa_user_sgpr_dispatch_ptr 0
		.amdhsa_user_sgpr_queue_ptr 0
		.amdhsa_user_sgpr_kernarg_segment_ptr 1
		.amdhsa_user_sgpr_dispatch_id 0
		.amdhsa_user_sgpr_flat_scratch_init 0
		.amdhsa_user_sgpr_kernarg_preload_length 0
		.amdhsa_user_sgpr_kernarg_preload_offset 0
		.amdhsa_user_sgpr_private_segment_size 0
		.amdhsa_uses_dynamic_stack 0
		.amdhsa_system_sgpr_private_segment_wavefront_offset 0
		.amdhsa_system_sgpr_workgroup_id_x 1
		.amdhsa_system_sgpr_workgroup_id_y 0
		.amdhsa_system_sgpr_workgroup_id_z 0
		.amdhsa_system_sgpr_workgroup_info 0
		.amdhsa_system_vgpr_workitem_id 0
		.amdhsa_next_free_vgpr 6
		.amdhsa_next_free_sgpr 8
		.amdhsa_accum_offset 8
		.amdhsa_reserve_vcc 1
		.amdhsa_reserve_flat_scratch 0
		.amdhsa_float_round_mode_32 0
		.amdhsa_float_round_mode_16_64 0
		.amdhsa_float_denorm_mode_32 3
		.amdhsa_float_denorm_mode_16_64 3
		.amdhsa_dx10_clamp 1
		.amdhsa_ieee_mode 1
		.amdhsa_fp16_overflow 0
		.amdhsa_tg_split 0
		.amdhsa_exception_fp_ieee_invalid_op 0
		.amdhsa_exception_fp_denorm_src 0
		.amdhsa_exception_fp_ieee_div_zero 0
		.amdhsa_exception_fp_ieee_overflow 0
		.amdhsa_exception_fp_ieee_underflow 0
		.amdhsa_exception_fp_ieee_inexact 0
		.amdhsa_exception_int_div_zero 0
	.end_amdhsa_kernel
	.section	.text._Z16operation_kernelIiLj256ELj2EL23memory_operation_method1E9operationIL16kernel_operation3EiLj2ELj256EEEvPT_S5_T3_,"axG",@progbits,_Z16operation_kernelIiLj256ELj2EL23memory_operation_method1E9operationIL16kernel_operation3EiLj2ELj256EEEvPT_S5_T3_,comdat
.Lfunc_end65:
	.size	_Z16operation_kernelIiLj256ELj2EL23memory_operation_method1E9operationIL16kernel_operation3EiLj2ELj256EEEvPT_S5_T3_, .Lfunc_end65-_Z16operation_kernelIiLj256ELj2EL23memory_operation_method1E9operationIL16kernel_operation3EiLj2ELj256EEEvPT_S5_T3_
                                        ; -- End function
	.section	.AMDGPU.csdata,"",@progbits
; Kernel info:
; codeLenInByte = 168
; NumSgprs: 12
; NumVgprs: 6
; NumAgprs: 0
; TotalNumVgprs: 6
; ScratchSize: 0
; MemoryBound: 0
; FloatMode: 240
; IeeeMode: 1
; LDSByteSize: 0 bytes/workgroup (compile time only)
; SGPRBlocks: 1
; VGPRBlocks: 0
; NumSGPRsForWavesPerEU: 12
; NumVGPRsForWavesPerEU: 6
; AccumOffset: 8
; Occupancy: 8
; WaveLimiterHint : 1
; COMPUTE_PGM_RSRC2:SCRATCH_EN: 0
; COMPUTE_PGM_RSRC2:USER_SGPR: 6
; COMPUTE_PGM_RSRC2:TRAP_HANDLER: 0
; COMPUTE_PGM_RSRC2:TGID_X_EN: 1
; COMPUTE_PGM_RSRC2:TGID_Y_EN: 0
; COMPUTE_PGM_RSRC2:TGID_Z_EN: 0
; COMPUTE_PGM_RSRC2:TIDIG_COMP_CNT: 0
; COMPUTE_PGM_RSRC3_GFX90A:ACCUM_OFFSET: 1
; COMPUTE_PGM_RSRC3_GFX90A:TG_SPLIT: 0
	.section	.text._Z16operation_kernelIiLj256ELj4EL23memory_operation_method1E9operationIL16kernel_operation3EiLj4ELj256EEEvPT_S5_T3_,"axG",@progbits,_Z16operation_kernelIiLj256ELj4EL23memory_operation_method1E9operationIL16kernel_operation3EiLj4ELj256EEEvPT_S5_T3_,comdat
	.protected	_Z16operation_kernelIiLj256ELj4EL23memory_operation_method1E9operationIL16kernel_operation3EiLj4ELj256EEEvPT_S5_T3_ ; -- Begin function _Z16operation_kernelIiLj256ELj4EL23memory_operation_method1E9operationIL16kernel_operation3EiLj4ELj256EEEvPT_S5_T3_
	.globl	_Z16operation_kernelIiLj256ELj4EL23memory_operation_method1E9operationIL16kernel_operation3EiLj4ELj256EEEvPT_S5_T3_
	.p2align	8
	.type	_Z16operation_kernelIiLj256ELj4EL23memory_operation_method1E9operationIL16kernel_operation3EiLj4ELj256EEEvPT_S5_T3_,@function
_Z16operation_kernelIiLj256ELj4EL23memory_operation_method1E9operationIL16kernel_operation3EiLj4ELj256EEEvPT_S5_T3_: ; @_Z16operation_kernelIiLj256ELj4EL23memory_operation_method1E9operationIL16kernel_operation3EiLj4ELj256EEEvPT_S5_T3_
; %bb.0:
	s_load_dwordx4 s[0:3], s[4:5], 0x0
	s_load_dword s7, s[4:5], 0x24
	s_lshl_b32 s4, s6, 10
	s_mov_b32 s5, 0
	s_lshl_b64 s[4:5], s[4:5], 2
	s_waitcnt lgkmcnt(0)
	s_add_u32 s0, s0, s4
	s_addc_u32 s1, s1, s5
	v_lshlrev_b32_e32 v2, 2, v0
	global_load_dword v3, v2, s[0:1]
	global_load_dword v4, v2, s[0:1] offset:1024
	global_load_dword v5, v2, s[0:1] offset:2048
	;; [unrolled: 1-line block ×3, first 2 shown]
	s_and_b32 s0, s7, 0xffff
	s_mul_i32 s6, s6, s0
	v_add_lshl_u32 v0, s6, v0, 2
	v_mov_b32_e32 v1, 0
	v_lshlrev_b64 v[0:1], 2, v[0:1]
	v_mov_b32_e32 v7, s3
	v_add_co_u32_e32 v0, vcc, s2, v0
	v_addc_co_u32_e32 v1, vcc, v7, v1, vcc
	v_mov_b32_e32 v7, 0x29a
	global_atomic_add v[0:1], v7, off
	global_atomic_add v[0:1], v7, off offset:4
	global_atomic_add v[0:1], v7, off offset:8
	;; [unrolled: 1-line block ×3, first 2 shown]
	s_add_u32 s0, s2, s4
	s_addc_u32 s1, s3, s5
	s_barrier
	s_waitcnt vmcnt(7)
	global_store_dword v2, v3, s[0:1]
	s_waitcnt vmcnt(7)
	global_store_dword v2, v4, s[0:1] offset:1024
	s_waitcnt vmcnt(7)
	global_store_dword v2, v5, s[0:1] offset:2048
	;; [unrolled: 2-line block ×3, first 2 shown]
	s_endpgm
	.section	.rodata,"a",@progbits
	.p2align	6, 0x0
	.amdhsa_kernel _Z16operation_kernelIiLj256ELj4EL23memory_operation_method1E9operationIL16kernel_operation3EiLj4ELj256EEEvPT_S5_T3_
		.amdhsa_group_segment_fixed_size 0
		.amdhsa_private_segment_fixed_size 0
		.amdhsa_kernarg_size 280
		.amdhsa_user_sgpr_count 6
		.amdhsa_user_sgpr_private_segment_buffer 1
		.amdhsa_user_sgpr_dispatch_ptr 0
		.amdhsa_user_sgpr_queue_ptr 0
		.amdhsa_user_sgpr_kernarg_segment_ptr 1
		.amdhsa_user_sgpr_dispatch_id 0
		.amdhsa_user_sgpr_flat_scratch_init 0
		.amdhsa_user_sgpr_kernarg_preload_length 0
		.amdhsa_user_sgpr_kernarg_preload_offset 0
		.amdhsa_user_sgpr_private_segment_size 0
		.amdhsa_uses_dynamic_stack 0
		.amdhsa_system_sgpr_private_segment_wavefront_offset 0
		.amdhsa_system_sgpr_workgroup_id_x 1
		.amdhsa_system_sgpr_workgroup_id_y 0
		.amdhsa_system_sgpr_workgroup_id_z 0
		.amdhsa_system_sgpr_workgroup_info 0
		.amdhsa_system_vgpr_workitem_id 0
		.amdhsa_next_free_vgpr 8
		.amdhsa_next_free_sgpr 8
		.amdhsa_accum_offset 8
		.amdhsa_reserve_vcc 1
		.amdhsa_reserve_flat_scratch 0
		.amdhsa_float_round_mode_32 0
		.amdhsa_float_round_mode_16_64 0
		.amdhsa_float_denorm_mode_32 3
		.amdhsa_float_denorm_mode_16_64 3
		.amdhsa_dx10_clamp 1
		.amdhsa_ieee_mode 1
		.amdhsa_fp16_overflow 0
		.amdhsa_tg_split 0
		.amdhsa_exception_fp_ieee_invalid_op 0
		.amdhsa_exception_fp_denorm_src 0
		.amdhsa_exception_fp_ieee_div_zero 0
		.amdhsa_exception_fp_ieee_overflow 0
		.amdhsa_exception_fp_ieee_underflow 0
		.amdhsa_exception_fp_ieee_inexact 0
		.amdhsa_exception_int_div_zero 0
	.end_amdhsa_kernel
	.section	.text._Z16operation_kernelIiLj256ELj4EL23memory_operation_method1E9operationIL16kernel_operation3EiLj4ELj256EEEvPT_S5_T3_,"axG",@progbits,_Z16operation_kernelIiLj256ELj4EL23memory_operation_method1E9operationIL16kernel_operation3EiLj4ELj256EEEvPT_S5_T3_,comdat
.Lfunc_end66:
	.size	_Z16operation_kernelIiLj256ELj4EL23memory_operation_method1E9operationIL16kernel_operation3EiLj4ELj256EEEvPT_S5_T3_, .Lfunc_end66-_Z16operation_kernelIiLj256ELj4EL23memory_operation_method1E9operationIL16kernel_operation3EiLj4ELj256EEEvPT_S5_T3_
                                        ; -- End function
	.section	.AMDGPU.csdata,"",@progbits
; Kernel info:
; codeLenInByte = 224
; NumSgprs: 12
; NumVgprs: 8
; NumAgprs: 0
; TotalNumVgprs: 8
; ScratchSize: 0
; MemoryBound: 0
; FloatMode: 240
; IeeeMode: 1
; LDSByteSize: 0 bytes/workgroup (compile time only)
; SGPRBlocks: 1
; VGPRBlocks: 0
; NumSGPRsForWavesPerEU: 12
; NumVGPRsForWavesPerEU: 8
; AccumOffset: 8
; Occupancy: 8
; WaveLimiterHint : 1
; COMPUTE_PGM_RSRC2:SCRATCH_EN: 0
; COMPUTE_PGM_RSRC2:USER_SGPR: 6
; COMPUTE_PGM_RSRC2:TRAP_HANDLER: 0
; COMPUTE_PGM_RSRC2:TGID_X_EN: 1
; COMPUTE_PGM_RSRC2:TGID_Y_EN: 0
; COMPUTE_PGM_RSRC2:TGID_Z_EN: 0
; COMPUTE_PGM_RSRC2:TIDIG_COMP_CNT: 0
; COMPUTE_PGM_RSRC3_GFX90A:ACCUM_OFFSET: 1
; COMPUTE_PGM_RSRC3_GFX90A:TG_SPLIT: 0
	.section	.text._Z16operation_kernelIiLj256ELj8EL23memory_operation_method1E9operationIL16kernel_operation3EiLj8ELj256EEEvPT_S5_T3_,"axG",@progbits,_Z16operation_kernelIiLj256ELj8EL23memory_operation_method1E9operationIL16kernel_operation3EiLj8ELj256EEEvPT_S5_T3_,comdat
	.protected	_Z16operation_kernelIiLj256ELj8EL23memory_operation_method1E9operationIL16kernel_operation3EiLj8ELj256EEEvPT_S5_T3_ ; -- Begin function _Z16operation_kernelIiLj256ELj8EL23memory_operation_method1E9operationIL16kernel_operation3EiLj8ELj256EEEvPT_S5_T3_
	.globl	_Z16operation_kernelIiLj256ELj8EL23memory_operation_method1E9operationIL16kernel_operation3EiLj8ELj256EEEvPT_S5_T3_
	.p2align	8
	.type	_Z16operation_kernelIiLj256ELj8EL23memory_operation_method1E9operationIL16kernel_operation3EiLj8ELj256EEEvPT_S5_T3_,@function
_Z16operation_kernelIiLj256ELj8EL23memory_operation_method1E9operationIL16kernel_operation3EiLj8ELj256EEEvPT_S5_T3_: ; @_Z16operation_kernelIiLj256ELj8EL23memory_operation_method1E9operationIL16kernel_operation3EiLj8ELj256EEEvPT_S5_T3_
; %bb.0:
	s_load_dwordx4 s[0:3], s[4:5], 0x0
	s_load_dword s7, s[4:5], 0x24
	s_lshl_b32 s4, s6, 11
	s_mov_b32 s5, 0
	s_lshl_b64 s[4:5], s[4:5], 2
	s_waitcnt lgkmcnt(0)
	s_add_u32 s0, s0, s4
	s_addc_u32 s1, s1, s5
	v_lshlrev_b32_e32 v4, 2, v0
	v_mov_b32_e32 v2, s1
	v_add_co_u32_e32 v3, vcc, s0, v4
	v_addc_co_u32_e32 v5, vcc, 0, v2, vcc
	s_movk_i32 s8, 0x1000
	v_add_co_u32_e32 v2, vcc, s8, v3
	v_addc_co_u32_e32 v3, vcc, 0, v5, vcc
	global_load_dword v5, v4, s[0:1]
	global_load_dword v6, v4, s[0:1] offset:1024
	global_load_dword v7, v4, s[0:1] offset:2048
	;; [unrolled: 1-line block ×3, first 2 shown]
	global_load_dword v9, v[2:3], off
	global_load_dword v10, v[2:3], off offset:1024
	global_load_dword v11, v[2:3], off offset:2048
	;; [unrolled: 1-line block ×3, first 2 shown]
	s_and_b32 s0, s7, 0xffff
	s_mul_i32 s6, s6, s0
	v_mov_b32_e32 v1, 0
	v_add_lshl_u32 v0, s6, v0, 3
	v_lshlrev_b64 v[0:1], 2, v[0:1]
	v_mov_b32_e32 v2, s3
	v_add_co_u32_e32 v0, vcc, s2, v0
	v_addc_co_u32_e32 v1, vcc, v2, v1, vcc
	v_mov_b32_e32 v2, 0x29a
	global_atomic_add v[0:1], v2, off
	global_atomic_add v[0:1], v2, off offset:4
	global_atomic_add v[0:1], v2, off offset:8
	;; [unrolled: 1-line block ×7, first 2 shown]
	s_add_u32 s0, s2, s4
	s_addc_u32 s1, s3, s5
	v_mov_b32_e32 v0, s1
	v_add_co_u32_e32 v1, vcc, s0, v4
	v_addc_co_u32_e32 v2, vcc, 0, v0, vcc
	v_add_co_u32_e32 v0, vcc, 0x1000, v1
	v_addc_co_u32_e32 v1, vcc, 0, v2, vcc
	s_barrier
	s_waitcnt vmcnt(15)
	global_store_dword v4, v5, s[0:1]
	s_waitcnt vmcnt(15)
	global_store_dword v4, v6, s[0:1] offset:1024
	s_waitcnt vmcnt(15)
	global_store_dword v4, v7, s[0:1] offset:2048
	;; [unrolled: 2-line block ×3, first 2 shown]
	s_waitcnt vmcnt(15)
	global_store_dword v[0:1], v9, off
	s_waitcnt vmcnt(15)
	global_store_dword v[0:1], v10, off offset:1024
	s_waitcnt vmcnt(15)
	global_store_dword v[0:1], v11, off offset:2048
	;; [unrolled: 2-line block ×3, first 2 shown]
	s_endpgm
	.section	.rodata,"a",@progbits
	.p2align	6, 0x0
	.amdhsa_kernel _Z16operation_kernelIiLj256ELj8EL23memory_operation_method1E9operationIL16kernel_operation3EiLj8ELj256EEEvPT_S5_T3_
		.amdhsa_group_segment_fixed_size 0
		.amdhsa_private_segment_fixed_size 0
		.amdhsa_kernarg_size 280
		.amdhsa_user_sgpr_count 6
		.amdhsa_user_sgpr_private_segment_buffer 1
		.amdhsa_user_sgpr_dispatch_ptr 0
		.amdhsa_user_sgpr_queue_ptr 0
		.amdhsa_user_sgpr_kernarg_segment_ptr 1
		.amdhsa_user_sgpr_dispatch_id 0
		.amdhsa_user_sgpr_flat_scratch_init 0
		.amdhsa_user_sgpr_kernarg_preload_length 0
		.amdhsa_user_sgpr_kernarg_preload_offset 0
		.amdhsa_user_sgpr_private_segment_size 0
		.amdhsa_uses_dynamic_stack 0
		.amdhsa_system_sgpr_private_segment_wavefront_offset 0
		.amdhsa_system_sgpr_workgroup_id_x 1
		.amdhsa_system_sgpr_workgroup_id_y 0
		.amdhsa_system_sgpr_workgroup_id_z 0
		.amdhsa_system_sgpr_workgroup_info 0
		.amdhsa_system_vgpr_workitem_id 0
		.amdhsa_next_free_vgpr 13
		.amdhsa_next_free_sgpr 9
		.amdhsa_accum_offset 16
		.amdhsa_reserve_vcc 1
		.amdhsa_reserve_flat_scratch 0
		.amdhsa_float_round_mode_32 0
		.amdhsa_float_round_mode_16_64 0
		.amdhsa_float_denorm_mode_32 3
		.amdhsa_float_denorm_mode_16_64 3
		.amdhsa_dx10_clamp 1
		.amdhsa_ieee_mode 1
		.amdhsa_fp16_overflow 0
		.amdhsa_tg_split 0
		.amdhsa_exception_fp_ieee_invalid_op 0
		.amdhsa_exception_fp_denorm_src 0
		.amdhsa_exception_fp_ieee_div_zero 0
		.amdhsa_exception_fp_ieee_overflow 0
		.amdhsa_exception_fp_ieee_underflow 0
		.amdhsa_exception_fp_ieee_inexact 0
		.amdhsa_exception_int_div_zero 0
	.end_amdhsa_kernel
	.section	.text._Z16operation_kernelIiLj256ELj8EL23memory_operation_method1E9operationIL16kernel_operation3EiLj8ELj256EEEvPT_S5_T3_,"axG",@progbits,_Z16operation_kernelIiLj256ELj8EL23memory_operation_method1E9operationIL16kernel_operation3EiLj8ELj256EEEvPT_S5_T3_,comdat
.Lfunc_end67:
	.size	_Z16operation_kernelIiLj256ELj8EL23memory_operation_method1E9operationIL16kernel_operation3EiLj8ELj256EEEvPT_S5_T3_, .Lfunc_end67-_Z16operation_kernelIiLj256ELj8EL23memory_operation_method1E9operationIL16kernel_operation3EiLj8ELj256EEEvPT_S5_T3_
                                        ; -- End function
	.section	.AMDGPU.csdata,"",@progbits
; Kernel info:
; codeLenInByte = 384
; NumSgprs: 13
; NumVgprs: 13
; NumAgprs: 0
; TotalNumVgprs: 13
; ScratchSize: 0
; MemoryBound: 0
; FloatMode: 240
; IeeeMode: 1
; LDSByteSize: 0 bytes/workgroup (compile time only)
; SGPRBlocks: 1
; VGPRBlocks: 1
; NumSGPRsForWavesPerEU: 13
; NumVGPRsForWavesPerEU: 13
; AccumOffset: 16
; Occupancy: 8
; WaveLimiterHint : 1
; COMPUTE_PGM_RSRC2:SCRATCH_EN: 0
; COMPUTE_PGM_RSRC2:USER_SGPR: 6
; COMPUTE_PGM_RSRC2:TRAP_HANDLER: 0
; COMPUTE_PGM_RSRC2:TGID_X_EN: 1
; COMPUTE_PGM_RSRC2:TGID_Y_EN: 0
; COMPUTE_PGM_RSRC2:TGID_Z_EN: 0
; COMPUTE_PGM_RSRC2:TIDIG_COMP_CNT: 0
; COMPUTE_PGM_RSRC3_GFX90A:ACCUM_OFFSET: 3
; COMPUTE_PGM_RSRC3_GFX90A:TG_SPLIT: 0
	.section	.text._Z16operation_kernelIiLj256ELj1EL23memory_operation_method2E9operationIL16kernel_operation3EiLj1ELj256EEEvPT_S5_T3_,"axG",@progbits,_Z16operation_kernelIiLj256ELj1EL23memory_operation_method2E9operationIL16kernel_operation3EiLj1ELj256EEEvPT_S5_T3_,comdat
	.protected	_Z16operation_kernelIiLj256ELj1EL23memory_operation_method2E9operationIL16kernel_operation3EiLj1ELj256EEEvPT_S5_T3_ ; -- Begin function _Z16operation_kernelIiLj256ELj1EL23memory_operation_method2E9operationIL16kernel_operation3EiLj1ELj256EEEvPT_S5_T3_
	.globl	_Z16operation_kernelIiLj256ELj1EL23memory_operation_method2E9operationIL16kernel_operation3EiLj1ELj256EEEvPT_S5_T3_
	.p2align	8
	.type	_Z16operation_kernelIiLj256ELj1EL23memory_operation_method2E9operationIL16kernel_operation3EiLj1ELj256EEEvPT_S5_T3_,@function
_Z16operation_kernelIiLj256ELj1EL23memory_operation_method2E9operationIL16kernel_operation3EiLj1ELj256EEEvPT_S5_T3_: ; @_Z16operation_kernelIiLj256ELj1EL23memory_operation_method2E9operationIL16kernel_operation3EiLj1ELj256EEEvPT_S5_T3_
; %bb.0:
	s_load_dwordx4 s[0:3], s[4:5], 0x0
	s_load_dword s7, s[4:5], 0x24
	s_lshl_b32 s4, s6, 8
	s_mov_b32 s5, 0
	s_lshl_b64 s[4:5], s[4:5], 2
	s_waitcnt lgkmcnt(0)
	s_add_u32 s0, s0, s4
	s_addc_u32 s1, s1, s5
	v_lshlrev_b32_e32 v2, 2, v0
	global_load_dword v3, v2, s[0:1]
	s_and_b32 s0, s7, 0xffff
	s_mul_i32 s6, s6, s0
	v_add_u32_e32 v0, s6, v0
	v_mov_b32_e32 v1, 0
	v_lshlrev_b64 v[0:1], 2, v[0:1]
	v_mov_b32_e32 v4, s3
	v_add_co_u32_e32 v0, vcc, s2, v0
	v_addc_co_u32_e32 v1, vcc, v4, v1, vcc
	v_mov_b32_e32 v4, 0x29a
	global_atomic_add v[0:1], v4, off
	s_add_u32 s0, s2, s4
	s_addc_u32 s1, s3, s5
	s_barrier
	s_waitcnt vmcnt(1)
	global_store_dword v2, v3, s[0:1]
	s_endpgm
	.section	.rodata,"a",@progbits
	.p2align	6, 0x0
	.amdhsa_kernel _Z16operation_kernelIiLj256ELj1EL23memory_operation_method2E9operationIL16kernel_operation3EiLj1ELj256EEEvPT_S5_T3_
		.amdhsa_group_segment_fixed_size 0
		.amdhsa_private_segment_fixed_size 0
		.amdhsa_kernarg_size 280
		.amdhsa_user_sgpr_count 6
		.amdhsa_user_sgpr_private_segment_buffer 1
		.amdhsa_user_sgpr_dispatch_ptr 0
		.amdhsa_user_sgpr_queue_ptr 0
		.amdhsa_user_sgpr_kernarg_segment_ptr 1
		.amdhsa_user_sgpr_dispatch_id 0
		.amdhsa_user_sgpr_flat_scratch_init 0
		.amdhsa_user_sgpr_kernarg_preload_length 0
		.amdhsa_user_sgpr_kernarg_preload_offset 0
		.amdhsa_user_sgpr_private_segment_size 0
		.amdhsa_uses_dynamic_stack 0
		.amdhsa_system_sgpr_private_segment_wavefront_offset 0
		.amdhsa_system_sgpr_workgroup_id_x 1
		.amdhsa_system_sgpr_workgroup_id_y 0
		.amdhsa_system_sgpr_workgroup_id_z 0
		.amdhsa_system_sgpr_workgroup_info 0
		.amdhsa_system_vgpr_workitem_id 0
		.amdhsa_next_free_vgpr 5
		.amdhsa_next_free_sgpr 8
		.amdhsa_accum_offset 8
		.amdhsa_reserve_vcc 1
		.amdhsa_reserve_flat_scratch 0
		.amdhsa_float_round_mode_32 0
		.amdhsa_float_round_mode_16_64 0
		.amdhsa_float_denorm_mode_32 3
		.amdhsa_float_denorm_mode_16_64 3
		.amdhsa_dx10_clamp 1
		.amdhsa_ieee_mode 1
		.amdhsa_fp16_overflow 0
		.amdhsa_tg_split 0
		.amdhsa_exception_fp_ieee_invalid_op 0
		.amdhsa_exception_fp_denorm_src 0
		.amdhsa_exception_fp_ieee_div_zero 0
		.amdhsa_exception_fp_ieee_overflow 0
		.amdhsa_exception_fp_ieee_underflow 0
		.amdhsa_exception_fp_ieee_inexact 0
		.amdhsa_exception_int_div_zero 0
	.end_amdhsa_kernel
	.section	.text._Z16operation_kernelIiLj256ELj1EL23memory_operation_method2E9operationIL16kernel_operation3EiLj1ELj256EEEvPT_S5_T3_,"axG",@progbits,_Z16operation_kernelIiLj256ELj1EL23memory_operation_method2E9operationIL16kernel_operation3EiLj1ELj256EEEvPT_S5_T3_,comdat
.Lfunc_end68:
	.size	_Z16operation_kernelIiLj256ELj1EL23memory_operation_method2E9operationIL16kernel_operation3EiLj1ELj256EEEvPT_S5_T3_, .Lfunc_end68-_Z16operation_kernelIiLj256ELj1EL23memory_operation_method2E9operationIL16kernel_operation3EiLj1ELj256EEEvPT_S5_T3_
                                        ; -- End function
	.section	.AMDGPU.csdata,"",@progbits
; Kernel info:
; codeLenInByte = 136
; NumSgprs: 12
; NumVgprs: 5
; NumAgprs: 0
; TotalNumVgprs: 5
; ScratchSize: 0
; MemoryBound: 0
; FloatMode: 240
; IeeeMode: 1
; LDSByteSize: 0 bytes/workgroup (compile time only)
; SGPRBlocks: 1
; VGPRBlocks: 0
; NumSGPRsForWavesPerEU: 12
; NumVGPRsForWavesPerEU: 5
; AccumOffset: 8
; Occupancy: 8
; WaveLimiterHint : 0
; COMPUTE_PGM_RSRC2:SCRATCH_EN: 0
; COMPUTE_PGM_RSRC2:USER_SGPR: 6
; COMPUTE_PGM_RSRC2:TRAP_HANDLER: 0
; COMPUTE_PGM_RSRC2:TGID_X_EN: 1
; COMPUTE_PGM_RSRC2:TGID_Y_EN: 0
; COMPUTE_PGM_RSRC2:TGID_Z_EN: 0
; COMPUTE_PGM_RSRC2:TIDIG_COMP_CNT: 0
; COMPUTE_PGM_RSRC3_GFX90A:ACCUM_OFFSET: 1
; COMPUTE_PGM_RSRC3_GFX90A:TG_SPLIT: 0
	.section	.text._Z16operation_kernelIiLj256ELj2EL23memory_operation_method2E9operationIL16kernel_operation3EiLj2ELj256EEEvPT_S5_T3_,"axG",@progbits,_Z16operation_kernelIiLj256ELj2EL23memory_operation_method2E9operationIL16kernel_operation3EiLj2ELj256EEEvPT_S5_T3_,comdat
	.protected	_Z16operation_kernelIiLj256ELj2EL23memory_operation_method2E9operationIL16kernel_operation3EiLj2ELj256EEEvPT_S5_T3_ ; -- Begin function _Z16operation_kernelIiLj256ELj2EL23memory_operation_method2E9operationIL16kernel_operation3EiLj2ELj256EEEvPT_S5_T3_
	.globl	_Z16operation_kernelIiLj256ELj2EL23memory_operation_method2E9operationIL16kernel_operation3EiLj2ELj256EEEvPT_S5_T3_
	.p2align	8
	.type	_Z16operation_kernelIiLj256ELj2EL23memory_operation_method2E9operationIL16kernel_operation3EiLj2ELj256EEEvPT_S5_T3_,@function
_Z16operation_kernelIiLj256ELj2EL23memory_operation_method2E9operationIL16kernel_operation3EiLj2ELj256EEEvPT_S5_T3_: ; @_Z16operation_kernelIiLj256ELj2EL23memory_operation_method2E9operationIL16kernel_operation3EiLj2ELj256EEEvPT_S5_T3_
; %bb.0:
	s_load_dwordx4 s[0:3], s[4:5], 0x0
	s_load_dword s7, s[4:5], 0x24
	s_lshl_b32 s4, s6, 9
	s_mov_b32 s5, 0
	s_lshl_b64 s[4:5], s[4:5], 2
	s_waitcnt lgkmcnt(0)
	s_add_u32 s0, s0, s4
	s_addc_u32 s1, s1, s5
	v_lshlrev_b32_e32 v4, 3, v0
	global_load_dwordx2 v[2:3], v4, s[0:1]
	s_and_b32 s0, s7, 0xffff
	s_mul_i32 s6, s6, s0
	v_add_lshl_u32 v0, s6, v0, 1
	v_mov_b32_e32 v1, 0
	v_lshlrev_b64 v[0:1], 2, v[0:1]
	v_mov_b32_e32 v5, s3
	v_add_co_u32_e32 v0, vcc, s2, v0
	v_addc_co_u32_e32 v1, vcc, v5, v1, vcc
	v_mov_b32_e32 v5, 0x29a
	global_atomic_add v[0:1], v5, off
	global_atomic_add v[0:1], v5, off offset:4
	s_add_u32 s0, s2, s4
	s_addc_u32 s1, s3, s5
	s_barrier
	s_waitcnt vmcnt(2)
	global_store_dwordx2 v4, v[2:3], s[0:1]
	s_endpgm
	.section	.rodata,"a",@progbits
	.p2align	6, 0x0
	.amdhsa_kernel _Z16operation_kernelIiLj256ELj2EL23memory_operation_method2E9operationIL16kernel_operation3EiLj2ELj256EEEvPT_S5_T3_
		.amdhsa_group_segment_fixed_size 0
		.amdhsa_private_segment_fixed_size 0
		.amdhsa_kernarg_size 280
		.amdhsa_user_sgpr_count 6
		.amdhsa_user_sgpr_private_segment_buffer 1
		.amdhsa_user_sgpr_dispatch_ptr 0
		.amdhsa_user_sgpr_queue_ptr 0
		.amdhsa_user_sgpr_kernarg_segment_ptr 1
		.amdhsa_user_sgpr_dispatch_id 0
		.amdhsa_user_sgpr_flat_scratch_init 0
		.amdhsa_user_sgpr_kernarg_preload_length 0
		.amdhsa_user_sgpr_kernarg_preload_offset 0
		.amdhsa_user_sgpr_private_segment_size 0
		.amdhsa_uses_dynamic_stack 0
		.amdhsa_system_sgpr_private_segment_wavefront_offset 0
		.amdhsa_system_sgpr_workgroup_id_x 1
		.amdhsa_system_sgpr_workgroup_id_y 0
		.amdhsa_system_sgpr_workgroup_id_z 0
		.amdhsa_system_sgpr_workgroup_info 0
		.amdhsa_system_vgpr_workitem_id 0
		.amdhsa_next_free_vgpr 6
		.amdhsa_next_free_sgpr 8
		.amdhsa_accum_offset 8
		.amdhsa_reserve_vcc 1
		.amdhsa_reserve_flat_scratch 0
		.amdhsa_float_round_mode_32 0
		.amdhsa_float_round_mode_16_64 0
		.amdhsa_float_denorm_mode_32 3
		.amdhsa_float_denorm_mode_16_64 3
		.amdhsa_dx10_clamp 1
		.amdhsa_ieee_mode 1
		.amdhsa_fp16_overflow 0
		.amdhsa_tg_split 0
		.amdhsa_exception_fp_ieee_invalid_op 0
		.amdhsa_exception_fp_denorm_src 0
		.amdhsa_exception_fp_ieee_div_zero 0
		.amdhsa_exception_fp_ieee_overflow 0
		.amdhsa_exception_fp_ieee_underflow 0
		.amdhsa_exception_fp_ieee_inexact 0
		.amdhsa_exception_int_div_zero 0
	.end_amdhsa_kernel
	.section	.text._Z16operation_kernelIiLj256ELj2EL23memory_operation_method2E9operationIL16kernel_operation3EiLj2ELj256EEEvPT_S5_T3_,"axG",@progbits,_Z16operation_kernelIiLj256ELj2EL23memory_operation_method2E9operationIL16kernel_operation3EiLj2ELj256EEEvPT_S5_T3_,comdat
.Lfunc_end69:
	.size	_Z16operation_kernelIiLj256ELj2EL23memory_operation_method2E9operationIL16kernel_operation3EiLj2ELj256EEEvPT_S5_T3_, .Lfunc_end69-_Z16operation_kernelIiLj256ELj2EL23memory_operation_method2E9operationIL16kernel_operation3EiLj2ELj256EEEvPT_S5_T3_
                                        ; -- End function
	.section	.AMDGPU.csdata,"",@progbits
; Kernel info:
; codeLenInByte = 148
; NumSgprs: 12
; NumVgprs: 6
; NumAgprs: 0
; TotalNumVgprs: 6
; ScratchSize: 0
; MemoryBound: 0
; FloatMode: 240
; IeeeMode: 1
; LDSByteSize: 0 bytes/workgroup (compile time only)
; SGPRBlocks: 1
; VGPRBlocks: 0
; NumSGPRsForWavesPerEU: 12
; NumVGPRsForWavesPerEU: 6
; AccumOffset: 8
; Occupancy: 8
; WaveLimiterHint : 0
; COMPUTE_PGM_RSRC2:SCRATCH_EN: 0
; COMPUTE_PGM_RSRC2:USER_SGPR: 6
; COMPUTE_PGM_RSRC2:TRAP_HANDLER: 0
; COMPUTE_PGM_RSRC2:TGID_X_EN: 1
; COMPUTE_PGM_RSRC2:TGID_Y_EN: 0
; COMPUTE_PGM_RSRC2:TGID_Z_EN: 0
; COMPUTE_PGM_RSRC2:TIDIG_COMP_CNT: 0
; COMPUTE_PGM_RSRC3_GFX90A:ACCUM_OFFSET: 1
; COMPUTE_PGM_RSRC3_GFX90A:TG_SPLIT: 0
	.section	.text._Z16operation_kernelIiLj256ELj4EL23memory_operation_method2E9operationIL16kernel_operation3EiLj4ELj256EEEvPT_S5_T3_,"axG",@progbits,_Z16operation_kernelIiLj256ELj4EL23memory_operation_method2E9operationIL16kernel_operation3EiLj4ELj256EEEvPT_S5_T3_,comdat
	.protected	_Z16operation_kernelIiLj256ELj4EL23memory_operation_method2E9operationIL16kernel_operation3EiLj4ELj256EEEvPT_S5_T3_ ; -- Begin function _Z16operation_kernelIiLj256ELj4EL23memory_operation_method2E9operationIL16kernel_operation3EiLj4ELj256EEEvPT_S5_T3_
	.globl	_Z16operation_kernelIiLj256ELj4EL23memory_operation_method2E9operationIL16kernel_operation3EiLj4ELj256EEEvPT_S5_T3_
	.p2align	8
	.type	_Z16operation_kernelIiLj256ELj4EL23memory_operation_method2E9operationIL16kernel_operation3EiLj4ELj256EEEvPT_S5_T3_,@function
_Z16operation_kernelIiLj256ELj4EL23memory_operation_method2E9operationIL16kernel_operation3EiLj4ELj256EEEvPT_S5_T3_: ; @_Z16operation_kernelIiLj256ELj4EL23memory_operation_method2E9operationIL16kernel_operation3EiLj4ELj256EEEvPT_S5_T3_
; %bb.0:
	s_load_dwordx4 s[0:3], s[4:5], 0x0
	s_load_dword s7, s[4:5], 0x24
	s_lshl_b32 s4, s6, 10
	s_mov_b32 s5, 0
	s_lshl_b64 s[4:5], s[4:5], 2
	s_waitcnt lgkmcnt(0)
	s_add_u32 s0, s0, s4
	s_addc_u32 s1, s1, s5
	s_and_b32 s7, s7, 0xffff
	s_mul_i32 s6, s6, s7
	v_lshlrev_b32_e32 v6, 4, v0
	v_add_lshl_u32 v0, s6, v0, 2
	v_mov_b32_e32 v1, 0
	v_lshlrev_b64 v[0:1], 2, v[0:1]
	v_mov_b32_e32 v2, s3
	v_add_co_u32_e32 v4, vcc, s2, v0
	v_addc_co_u32_e32 v5, vcc, v2, v1, vcc
	v_mov_b32_e32 v7, 0x29a
	global_load_dwordx4 v[0:3], v6, s[0:1]
	s_nop 0
	global_atomic_add v[4:5], v7, off
	global_atomic_add v[4:5], v7, off offset:4
	global_atomic_add v[4:5], v7, off offset:8
	;; [unrolled: 1-line block ×3, first 2 shown]
	s_add_u32 s0, s2, s4
	s_addc_u32 s1, s3, s5
	s_barrier
	s_waitcnt vmcnt(4)
	global_store_dwordx4 v6, v[0:3], s[0:1]
	s_endpgm
	.section	.rodata,"a",@progbits
	.p2align	6, 0x0
	.amdhsa_kernel _Z16operation_kernelIiLj256ELj4EL23memory_operation_method2E9operationIL16kernel_operation3EiLj4ELj256EEEvPT_S5_T3_
		.amdhsa_group_segment_fixed_size 0
		.amdhsa_private_segment_fixed_size 0
		.amdhsa_kernarg_size 280
		.amdhsa_user_sgpr_count 6
		.amdhsa_user_sgpr_private_segment_buffer 1
		.amdhsa_user_sgpr_dispatch_ptr 0
		.amdhsa_user_sgpr_queue_ptr 0
		.amdhsa_user_sgpr_kernarg_segment_ptr 1
		.amdhsa_user_sgpr_dispatch_id 0
		.amdhsa_user_sgpr_flat_scratch_init 0
		.amdhsa_user_sgpr_kernarg_preload_length 0
		.amdhsa_user_sgpr_kernarg_preload_offset 0
		.amdhsa_user_sgpr_private_segment_size 0
		.amdhsa_uses_dynamic_stack 0
		.amdhsa_system_sgpr_private_segment_wavefront_offset 0
		.amdhsa_system_sgpr_workgroup_id_x 1
		.amdhsa_system_sgpr_workgroup_id_y 0
		.amdhsa_system_sgpr_workgroup_id_z 0
		.amdhsa_system_sgpr_workgroup_info 0
		.amdhsa_system_vgpr_workitem_id 0
		.amdhsa_next_free_vgpr 8
		.amdhsa_next_free_sgpr 8
		.amdhsa_accum_offset 8
		.amdhsa_reserve_vcc 1
		.amdhsa_reserve_flat_scratch 0
		.amdhsa_float_round_mode_32 0
		.amdhsa_float_round_mode_16_64 0
		.amdhsa_float_denorm_mode_32 3
		.amdhsa_float_denorm_mode_16_64 3
		.amdhsa_dx10_clamp 1
		.amdhsa_ieee_mode 1
		.amdhsa_fp16_overflow 0
		.amdhsa_tg_split 0
		.amdhsa_exception_fp_ieee_invalid_op 0
		.amdhsa_exception_fp_denorm_src 0
		.amdhsa_exception_fp_ieee_div_zero 0
		.amdhsa_exception_fp_ieee_overflow 0
		.amdhsa_exception_fp_ieee_underflow 0
		.amdhsa_exception_fp_ieee_inexact 0
		.amdhsa_exception_int_div_zero 0
	.end_amdhsa_kernel
	.section	.text._Z16operation_kernelIiLj256ELj4EL23memory_operation_method2E9operationIL16kernel_operation3EiLj4ELj256EEEvPT_S5_T3_,"axG",@progbits,_Z16operation_kernelIiLj256ELj4EL23memory_operation_method2E9operationIL16kernel_operation3EiLj4ELj256EEEvPT_S5_T3_,comdat
.Lfunc_end70:
	.size	_Z16operation_kernelIiLj256ELj4EL23memory_operation_method2E9operationIL16kernel_operation3EiLj4ELj256EEEvPT_S5_T3_, .Lfunc_end70-_Z16operation_kernelIiLj256ELj4EL23memory_operation_method2E9operationIL16kernel_operation3EiLj4ELj256EEEvPT_S5_T3_
                                        ; -- End function
	.section	.AMDGPU.csdata,"",@progbits
; Kernel info:
; codeLenInByte = 168
; NumSgprs: 12
; NumVgprs: 8
; NumAgprs: 0
; TotalNumVgprs: 8
; ScratchSize: 0
; MemoryBound: 0
; FloatMode: 240
; IeeeMode: 1
; LDSByteSize: 0 bytes/workgroup (compile time only)
; SGPRBlocks: 1
; VGPRBlocks: 0
; NumSGPRsForWavesPerEU: 12
; NumVGPRsForWavesPerEU: 8
; AccumOffset: 8
; Occupancy: 8
; WaveLimiterHint : 0
; COMPUTE_PGM_RSRC2:SCRATCH_EN: 0
; COMPUTE_PGM_RSRC2:USER_SGPR: 6
; COMPUTE_PGM_RSRC2:TRAP_HANDLER: 0
; COMPUTE_PGM_RSRC2:TGID_X_EN: 1
; COMPUTE_PGM_RSRC2:TGID_Y_EN: 0
; COMPUTE_PGM_RSRC2:TGID_Z_EN: 0
; COMPUTE_PGM_RSRC2:TIDIG_COMP_CNT: 0
; COMPUTE_PGM_RSRC3_GFX90A:ACCUM_OFFSET: 1
; COMPUTE_PGM_RSRC3_GFX90A:TG_SPLIT: 0
	.section	.text._Z16operation_kernelIiLj256ELj8EL23memory_operation_method2E9operationIL16kernel_operation3EiLj8ELj256EEEvPT_S5_T3_,"axG",@progbits,_Z16operation_kernelIiLj256ELj8EL23memory_operation_method2E9operationIL16kernel_operation3EiLj8ELj256EEEvPT_S5_T3_,comdat
	.protected	_Z16operation_kernelIiLj256ELj8EL23memory_operation_method2E9operationIL16kernel_operation3EiLj8ELj256EEEvPT_S5_T3_ ; -- Begin function _Z16operation_kernelIiLj256ELj8EL23memory_operation_method2E9operationIL16kernel_operation3EiLj8ELj256EEEvPT_S5_T3_
	.globl	_Z16operation_kernelIiLj256ELj8EL23memory_operation_method2E9operationIL16kernel_operation3EiLj8ELj256EEEvPT_S5_T3_
	.p2align	8
	.type	_Z16operation_kernelIiLj256ELj8EL23memory_operation_method2E9operationIL16kernel_operation3EiLj8ELj256EEEvPT_S5_T3_,@function
_Z16operation_kernelIiLj256ELj8EL23memory_operation_method2E9operationIL16kernel_operation3EiLj8ELj256EEEvPT_S5_T3_: ; @_Z16operation_kernelIiLj256ELj8EL23memory_operation_method2E9operationIL16kernel_operation3EiLj8ELj256EEEvPT_S5_T3_
; %bb.0:
	s_load_dwordx4 s[0:3], s[4:5], 0x0
	s_load_dword s7, s[4:5], 0x24
	s_lshl_b32 s4, s6, 11
	s_mov_b32 s5, 0
	s_lshl_b64 s[4:5], s[4:5], 2
	s_waitcnt lgkmcnt(0)
	s_add_u32 s0, s0, s4
	s_addc_u32 s1, s1, s5
	s_and_b32 s7, s7, 0xffff
	s_mul_i32 s6, s6, s7
	v_lshlrev_b32_e32 v10, 5, v0
	v_add_lshl_u32 v0, s6, v0, 3
	v_mov_b32_e32 v1, 0
	v_lshlrev_b64 v[0:1], 2, v[0:1]
	v_mov_b32_e32 v2, s3
	v_add_co_u32_e32 v8, vcc, s2, v0
	v_addc_co_u32_e32 v9, vcc, v2, v1, vcc
	v_mov_b32_e32 v11, 0x29a
	global_load_dwordx4 v[0:3], v10, s[0:1] offset:16
	global_load_dwordx4 v[4:7], v10, s[0:1]
	s_nop 0
	global_atomic_add v[8:9], v11, off
	global_atomic_add v[8:9], v11, off offset:4
	global_atomic_add v[8:9], v11, off offset:8
	;; [unrolled: 1-line block ×7, first 2 shown]
	s_add_u32 s0, s2, s4
	s_addc_u32 s1, s3, s5
	s_barrier
	s_waitcnt vmcnt(8)
	global_store_dwordx4 v10, v[4:7], s[0:1]
	global_store_dwordx4 v10, v[0:3], s[0:1] offset:16
	s_endpgm
	.section	.rodata,"a",@progbits
	.p2align	6, 0x0
	.amdhsa_kernel _Z16operation_kernelIiLj256ELj8EL23memory_operation_method2E9operationIL16kernel_operation3EiLj8ELj256EEEvPT_S5_T3_
		.amdhsa_group_segment_fixed_size 0
		.amdhsa_private_segment_fixed_size 0
		.amdhsa_kernarg_size 280
		.amdhsa_user_sgpr_count 6
		.amdhsa_user_sgpr_private_segment_buffer 1
		.amdhsa_user_sgpr_dispatch_ptr 0
		.amdhsa_user_sgpr_queue_ptr 0
		.amdhsa_user_sgpr_kernarg_segment_ptr 1
		.amdhsa_user_sgpr_dispatch_id 0
		.amdhsa_user_sgpr_flat_scratch_init 0
		.amdhsa_user_sgpr_kernarg_preload_length 0
		.amdhsa_user_sgpr_kernarg_preload_offset 0
		.amdhsa_user_sgpr_private_segment_size 0
		.amdhsa_uses_dynamic_stack 0
		.amdhsa_system_sgpr_private_segment_wavefront_offset 0
		.amdhsa_system_sgpr_workgroup_id_x 1
		.amdhsa_system_sgpr_workgroup_id_y 0
		.amdhsa_system_sgpr_workgroup_id_z 0
		.amdhsa_system_sgpr_workgroup_info 0
		.amdhsa_system_vgpr_workitem_id 0
		.amdhsa_next_free_vgpr 12
		.amdhsa_next_free_sgpr 8
		.amdhsa_accum_offset 12
		.amdhsa_reserve_vcc 1
		.amdhsa_reserve_flat_scratch 0
		.amdhsa_float_round_mode_32 0
		.amdhsa_float_round_mode_16_64 0
		.amdhsa_float_denorm_mode_32 3
		.amdhsa_float_denorm_mode_16_64 3
		.amdhsa_dx10_clamp 1
		.amdhsa_ieee_mode 1
		.amdhsa_fp16_overflow 0
		.amdhsa_tg_split 0
		.amdhsa_exception_fp_ieee_invalid_op 0
		.amdhsa_exception_fp_denorm_src 0
		.amdhsa_exception_fp_ieee_div_zero 0
		.amdhsa_exception_fp_ieee_overflow 0
		.amdhsa_exception_fp_ieee_underflow 0
		.amdhsa_exception_fp_ieee_inexact 0
		.amdhsa_exception_int_div_zero 0
	.end_amdhsa_kernel
	.section	.text._Z16operation_kernelIiLj256ELj8EL23memory_operation_method2E9operationIL16kernel_operation3EiLj8ELj256EEEvPT_S5_T3_,"axG",@progbits,_Z16operation_kernelIiLj256ELj8EL23memory_operation_method2E9operationIL16kernel_operation3EiLj8ELj256EEEvPT_S5_T3_,comdat
.Lfunc_end71:
	.size	_Z16operation_kernelIiLj256ELj8EL23memory_operation_method2E9operationIL16kernel_operation3EiLj8ELj256EEEvPT_S5_T3_, .Lfunc_end71-_Z16operation_kernelIiLj256ELj8EL23memory_operation_method2E9operationIL16kernel_operation3EiLj8ELj256EEEvPT_S5_T3_
                                        ; -- End function
	.section	.AMDGPU.csdata,"",@progbits
; Kernel info:
; codeLenInByte = 216
; NumSgprs: 12
; NumVgprs: 12
; NumAgprs: 0
; TotalNumVgprs: 12
; ScratchSize: 0
; MemoryBound: 0
; FloatMode: 240
; IeeeMode: 1
; LDSByteSize: 0 bytes/workgroup (compile time only)
; SGPRBlocks: 1
; VGPRBlocks: 1
; NumSGPRsForWavesPerEU: 12
; NumVGPRsForWavesPerEU: 12
; AccumOffset: 12
; Occupancy: 8
; WaveLimiterHint : 0
; COMPUTE_PGM_RSRC2:SCRATCH_EN: 0
; COMPUTE_PGM_RSRC2:USER_SGPR: 6
; COMPUTE_PGM_RSRC2:TRAP_HANDLER: 0
; COMPUTE_PGM_RSRC2:TGID_X_EN: 1
; COMPUTE_PGM_RSRC2:TGID_Y_EN: 0
; COMPUTE_PGM_RSRC2:TGID_Z_EN: 0
; COMPUTE_PGM_RSRC2:TIDIG_COMP_CNT: 0
; COMPUTE_PGM_RSRC3_GFX90A:ACCUM_OFFSET: 2
; COMPUTE_PGM_RSRC3_GFX90A:TG_SPLIT: 0
	.section	.text._Z16operation_kernelIiLj256ELj1EL23memory_operation_method3E9operationIL16kernel_operation3EiLj1ELj256EEEvPT_S5_T3_,"axG",@progbits,_Z16operation_kernelIiLj256ELj1EL23memory_operation_method3E9operationIL16kernel_operation3EiLj1ELj256EEEvPT_S5_T3_,comdat
	.protected	_Z16operation_kernelIiLj256ELj1EL23memory_operation_method3E9operationIL16kernel_operation3EiLj1ELj256EEEvPT_S5_T3_ ; -- Begin function _Z16operation_kernelIiLj256ELj1EL23memory_operation_method3E9operationIL16kernel_operation3EiLj1ELj256EEEvPT_S5_T3_
	.globl	_Z16operation_kernelIiLj256ELj1EL23memory_operation_method3E9operationIL16kernel_operation3EiLj1ELj256EEEvPT_S5_T3_
	.p2align	8
	.type	_Z16operation_kernelIiLj256ELj1EL23memory_operation_method3E9operationIL16kernel_operation3EiLj1ELj256EEEvPT_S5_T3_,@function
_Z16operation_kernelIiLj256ELj1EL23memory_operation_method3E9operationIL16kernel_operation3EiLj1ELj256EEEvPT_S5_T3_: ; @_Z16operation_kernelIiLj256ELj1EL23memory_operation_method3E9operationIL16kernel_operation3EiLj1ELj256EEEvPT_S5_T3_
; %bb.0:
	s_load_dwordx4 s[0:3], s[4:5], 0x0
	s_load_dword s7, s[4:5], 0x24
	s_lshl_b32 s4, s6, 8
	s_mov_b32 s5, 0
	s_lshl_b64 s[4:5], s[4:5], 2
	s_waitcnt lgkmcnt(0)
	s_add_u32 s0, s0, s4
	s_addc_u32 s1, s1, s5
	v_lshlrev_b32_e32 v2, 2, v0
	global_load_dword v3, v2, s[0:1]
	s_and_b32 s0, s7, 0xffff
	s_mul_i32 s6, s6, s0
	v_mov_b32_e32 v1, 0
	v_add_u32_e32 v0, s6, v0
	v_lshlrev_b64 v[0:1], 2, v[0:1]
	v_mov_b32_e32 v5, s3
	v_add_co_u32_e32 v0, vcc, s2, v0
	v_mov_b32_e32 v4, 0x29a
	v_addc_co_u32_e32 v1, vcc, v5, v1, vcc
	s_add_u32 s0, s2, s4
	s_addc_u32 s1, s3, s5
	s_waitcnt vmcnt(0)
	ds_write_b32 v2, v3
	s_waitcnt lgkmcnt(0)
	s_barrier
	ds_read_b32 v3, v2
	global_atomic_add v[0:1], v4, off
	s_waitcnt lgkmcnt(0)
	s_barrier
	ds_write_b32 v2, v3
	s_waitcnt lgkmcnt(0)
	s_barrier
	ds_read_b32 v0, v2
	s_waitcnt lgkmcnt(0)
	global_store_dword v2, v0, s[0:1]
	s_endpgm
	.section	.rodata,"a",@progbits
	.p2align	6, 0x0
	.amdhsa_kernel _Z16operation_kernelIiLj256ELj1EL23memory_operation_method3E9operationIL16kernel_operation3EiLj1ELj256EEEvPT_S5_T3_
		.amdhsa_group_segment_fixed_size 1024
		.amdhsa_private_segment_fixed_size 0
		.amdhsa_kernarg_size 280
		.amdhsa_user_sgpr_count 6
		.amdhsa_user_sgpr_private_segment_buffer 1
		.amdhsa_user_sgpr_dispatch_ptr 0
		.amdhsa_user_sgpr_queue_ptr 0
		.amdhsa_user_sgpr_kernarg_segment_ptr 1
		.amdhsa_user_sgpr_dispatch_id 0
		.amdhsa_user_sgpr_flat_scratch_init 0
		.amdhsa_user_sgpr_kernarg_preload_length 0
		.amdhsa_user_sgpr_kernarg_preload_offset 0
		.amdhsa_user_sgpr_private_segment_size 0
		.amdhsa_uses_dynamic_stack 0
		.amdhsa_system_sgpr_private_segment_wavefront_offset 0
		.amdhsa_system_sgpr_workgroup_id_x 1
		.amdhsa_system_sgpr_workgroup_id_y 0
		.amdhsa_system_sgpr_workgroup_id_z 0
		.amdhsa_system_sgpr_workgroup_info 0
		.amdhsa_system_vgpr_workitem_id 0
		.amdhsa_next_free_vgpr 6
		.amdhsa_next_free_sgpr 8
		.amdhsa_accum_offset 8
		.amdhsa_reserve_vcc 1
		.amdhsa_reserve_flat_scratch 0
		.amdhsa_float_round_mode_32 0
		.amdhsa_float_round_mode_16_64 0
		.amdhsa_float_denorm_mode_32 3
		.amdhsa_float_denorm_mode_16_64 3
		.amdhsa_dx10_clamp 1
		.amdhsa_ieee_mode 1
		.amdhsa_fp16_overflow 0
		.amdhsa_tg_split 0
		.amdhsa_exception_fp_ieee_invalid_op 0
		.amdhsa_exception_fp_denorm_src 0
		.amdhsa_exception_fp_ieee_div_zero 0
		.amdhsa_exception_fp_ieee_overflow 0
		.amdhsa_exception_fp_ieee_underflow 0
		.amdhsa_exception_fp_ieee_inexact 0
		.amdhsa_exception_int_div_zero 0
	.end_amdhsa_kernel
	.section	.text._Z16operation_kernelIiLj256ELj1EL23memory_operation_method3E9operationIL16kernel_operation3EiLj1ELj256EEEvPT_S5_T3_,"axG",@progbits,_Z16operation_kernelIiLj256ELj1EL23memory_operation_method3E9operationIL16kernel_operation3EiLj1ELj256EEEvPT_S5_T3_,comdat
.Lfunc_end72:
	.size	_Z16operation_kernelIiLj256ELj1EL23memory_operation_method3E9operationIL16kernel_operation3EiLj1ELj256EEEvPT_S5_T3_, .Lfunc_end72-_Z16operation_kernelIiLj256ELj1EL23memory_operation_method3E9operationIL16kernel_operation3EiLj1ELj256EEEvPT_S5_T3_
                                        ; -- End function
	.section	.AMDGPU.csdata,"",@progbits
; Kernel info:
; codeLenInByte = 192
; NumSgprs: 12
; NumVgprs: 6
; NumAgprs: 0
; TotalNumVgprs: 6
; ScratchSize: 0
; MemoryBound: 0
; FloatMode: 240
; IeeeMode: 1
; LDSByteSize: 1024 bytes/workgroup (compile time only)
; SGPRBlocks: 1
; VGPRBlocks: 0
; NumSGPRsForWavesPerEU: 12
; NumVGPRsForWavesPerEU: 6
; AccumOffset: 8
; Occupancy: 8
; WaveLimiterHint : 0
; COMPUTE_PGM_RSRC2:SCRATCH_EN: 0
; COMPUTE_PGM_RSRC2:USER_SGPR: 6
; COMPUTE_PGM_RSRC2:TRAP_HANDLER: 0
; COMPUTE_PGM_RSRC2:TGID_X_EN: 1
; COMPUTE_PGM_RSRC2:TGID_Y_EN: 0
; COMPUTE_PGM_RSRC2:TGID_Z_EN: 0
; COMPUTE_PGM_RSRC2:TIDIG_COMP_CNT: 0
; COMPUTE_PGM_RSRC3_GFX90A:ACCUM_OFFSET: 1
; COMPUTE_PGM_RSRC3_GFX90A:TG_SPLIT: 0
	.section	.text._Z16operation_kernelIiLj256ELj2EL23memory_operation_method3E9operationIL16kernel_operation3EiLj2ELj256EEEvPT_S5_T3_,"axG",@progbits,_Z16operation_kernelIiLj256ELj2EL23memory_operation_method3E9operationIL16kernel_operation3EiLj2ELj256EEEvPT_S5_T3_,comdat
	.protected	_Z16operation_kernelIiLj256ELj2EL23memory_operation_method3E9operationIL16kernel_operation3EiLj2ELj256EEEvPT_S5_T3_ ; -- Begin function _Z16operation_kernelIiLj256ELj2EL23memory_operation_method3E9operationIL16kernel_operation3EiLj2ELj256EEEvPT_S5_T3_
	.globl	_Z16operation_kernelIiLj256ELj2EL23memory_operation_method3E9operationIL16kernel_operation3EiLj2ELj256EEEvPT_S5_T3_
	.p2align	8
	.type	_Z16operation_kernelIiLj256ELj2EL23memory_operation_method3E9operationIL16kernel_operation3EiLj2ELj256EEEvPT_S5_T3_,@function
_Z16operation_kernelIiLj256ELj2EL23memory_operation_method3E9operationIL16kernel_operation3EiLj2ELj256EEEvPT_S5_T3_: ; @_Z16operation_kernelIiLj256ELj2EL23memory_operation_method3E9operationIL16kernel_operation3EiLj2ELj256EEEvPT_S5_T3_
; %bb.0:
	s_load_dwordx4 s[0:3], s[4:5], 0x0
	s_load_dword s7, s[4:5], 0x24
	s_lshl_b32 s4, s6, 9
	s_mov_b32 s5, 0
	s_lshl_b64 s[4:5], s[4:5], 2
	s_waitcnt lgkmcnt(0)
	s_add_u32 s0, s0, s4
	s_addc_u32 s1, s1, s5
	v_lshlrev_b32_e32 v4, 2, v0
	global_load_dword v1, v4, s[0:1]
	global_load_dword v5, v4, s[0:1] offset:1024
	v_lshrrev_b32_e32 v2, 5, v0
	v_or_b32_e32 v7, 0x100, v0
	s_and_b32 s0, s7, 0xffff
	v_add_lshl_u32 v8, v2, v0, 2
	v_lshrrev_b32_e32 v2, 5, v7
	s_mul_i32 s6, s6, s0
	v_mov_b32_e32 v3, 0
	v_add_lshl_u32 v7, v2, v0, 2
	v_add_lshl_u32 v2, s6, v0, 1
	v_lshlrev_b64 v[2:3], 2, v[2:3]
	v_mov_b32_e32 v9, s3
	v_add_co_u32_e32 v2, vcc, s2, v2
	v_mov_b32_e32 v6, 0x29a
	v_addc_co_u32_e32 v3, vcc, v9, v3, vcc
	s_add_u32 s0, s2, s4
	s_addc_u32 s1, s3, s5
	s_waitcnt vmcnt(1)
	ds_write_b32 v8, v1
	s_waitcnt vmcnt(0)
	ds_write_b32 v7, v5 offset:1024
	s_waitcnt lgkmcnt(0)
	s_barrier
	global_atomic_add v[2:3], v6, off
	global_atomic_add v[2:3], v6, off offset:4
	v_lshlrev_b32_e32 v1, 1, v0
	v_lshrrev_b32_e32 v0, 4, v0
	v_add_lshl_u32 v2, v0, v1, 2
	ds_read2_b32 v[0:1], v2 offset1:1
	s_waitcnt lgkmcnt(0)
	s_barrier
	ds_write2_b32 v2, v0, v1 offset1:1
	s_waitcnt lgkmcnt(0)
	s_barrier
	ds_read_b32 v0, v8
	ds_read_b32 v1, v7 offset:1024
	s_waitcnt lgkmcnt(1)
	global_store_dword v4, v0, s[0:1]
	s_waitcnt lgkmcnt(0)
	global_store_dword v4, v1, s[0:1] offset:1024
	s_endpgm
	.section	.rodata,"a",@progbits
	.p2align	6, 0x0
	.amdhsa_kernel _Z16operation_kernelIiLj256ELj2EL23memory_operation_method3E9operationIL16kernel_operation3EiLj2ELj256EEEvPT_S5_T3_
		.amdhsa_group_segment_fixed_size 2112
		.amdhsa_private_segment_fixed_size 0
		.amdhsa_kernarg_size 280
		.amdhsa_user_sgpr_count 6
		.amdhsa_user_sgpr_private_segment_buffer 1
		.amdhsa_user_sgpr_dispatch_ptr 0
		.amdhsa_user_sgpr_queue_ptr 0
		.amdhsa_user_sgpr_kernarg_segment_ptr 1
		.amdhsa_user_sgpr_dispatch_id 0
		.amdhsa_user_sgpr_flat_scratch_init 0
		.amdhsa_user_sgpr_kernarg_preload_length 0
		.amdhsa_user_sgpr_kernarg_preload_offset 0
		.amdhsa_user_sgpr_private_segment_size 0
		.amdhsa_uses_dynamic_stack 0
		.amdhsa_system_sgpr_private_segment_wavefront_offset 0
		.amdhsa_system_sgpr_workgroup_id_x 1
		.amdhsa_system_sgpr_workgroup_id_y 0
		.amdhsa_system_sgpr_workgroup_id_z 0
		.amdhsa_system_sgpr_workgroup_info 0
		.amdhsa_system_vgpr_workitem_id 0
		.amdhsa_next_free_vgpr 10
		.amdhsa_next_free_sgpr 8
		.amdhsa_accum_offset 12
		.amdhsa_reserve_vcc 1
		.amdhsa_reserve_flat_scratch 0
		.amdhsa_float_round_mode_32 0
		.amdhsa_float_round_mode_16_64 0
		.amdhsa_float_denorm_mode_32 3
		.amdhsa_float_denorm_mode_16_64 3
		.amdhsa_dx10_clamp 1
		.amdhsa_ieee_mode 1
		.amdhsa_fp16_overflow 0
		.amdhsa_tg_split 0
		.amdhsa_exception_fp_ieee_invalid_op 0
		.amdhsa_exception_fp_denorm_src 0
		.amdhsa_exception_fp_ieee_div_zero 0
		.amdhsa_exception_fp_ieee_overflow 0
		.amdhsa_exception_fp_ieee_underflow 0
		.amdhsa_exception_fp_ieee_inexact 0
		.amdhsa_exception_int_div_zero 0
	.end_amdhsa_kernel
	.section	.text._Z16operation_kernelIiLj256ELj2EL23memory_operation_method3E9operationIL16kernel_operation3EiLj2ELj256EEEvPT_S5_T3_,"axG",@progbits,_Z16operation_kernelIiLj256ELj2EL23memory_operation_method3E9operationIL16kernel_operation3EiLj2ELj256EEEvPT_S5_T3_,comdat
.Lfunc_end73:
	.size	_Z16operation_kernelIiLj256ELj2EL23memory_operation_method3E9operationIL16kernel_operation3EiLj2ELj256EEEvPT_S5_T3_, .Lfunc_end73-_Z16operation_kernelIiLj256ELj2EL23memory_operation_method3E9operationIL16kernel_operation3EiLj2ELj256EEEvPT_S5_T3_
                                        ; -- End function
	.section	.AMDGPU.csdata,"",@progbits
; Kernel info:
; codeLenInByte = 292
; NumSgprs: 12
; NumVgprs: 10
; NumAgprs: 0
; TotalNumVgprs: 10
; ScratchSize: 0
; MemoryBound: 0
; FloatMode: 240
; IeeeMode: 1
; LDSByteSize: 2112 bytes/workgroup (compile time only)
; SGPRBlocks: 1
; VGPRBlocks: 1
; NumSGPRsForWavesPerEU: 12
; NumVGPRsForWavesPerEU: 10
; AccumOffset: 12
; Occupancy: 8
; WaveLimiterHint : 1
; COMPUTE_PGM_RSRC2:SCRATCH_EN: 0
; COMPUTE_PGM_RSRC2:USER_SGPR: 6
; COMPUTE_PGM_RSRC2:TRAP_HANDLER: 0
; COMPUTE_PGM_RSRC2:TGID_X_EN: 1
; COMPUTE_PGM_RSRC2:TGID_Y_EN: 0
; COMPUTE_PGM_RSRC2:TGID_Z_EN: 0
; COMPUTE_PGM_RSRC2:TIDIG_COMP_CNT: 0
; COMPUTE_PGM_RSRC3_GFX90A:ACCUM_OFFSET: 2
; COMPUTE_PGM_RSRC3_GFX90A:TG_SPLIT: 0
	.section	.text._Z16operation_kernelIiLj256ELj4EL23memory_operation_method3E9operationIL16kernel_operation3EiLj4ELj256EEEvPT_S5_T3_,"axG",@progbits,_Z16operation_kernelIiLj256ELj4EL23memory_operation_method3E9operationIL16kernel_operation3EiLj4ELj256EEEvPT_S5_T3_,comdat
	.protected	_Z16operation_kernelIiLj256ELj4EL23memory_operation_method3E9operationIL16kernel_operation3EiLj4ELj256EEEvPT_S5_T3_ ; -- Begin function _Z16operation_kernelIiLj256ELj4EL23memory_operation_method3E9operationIL16kernel_operation3EiLj4ELj256EEEvPT_S5_T3_
	.globl	_Z16operation_kernelIiLj256ELj4EL23memory_operation_method3E9operationIL16kernel_operation3EiLj4ELj256EEEvPT_S5_T3_
	.p2align	8
	.type	_Z16operation_kernelIiLj256ELj4EL23memory_operation_method3E9operationIL16kernel_operation3EiLj4ELj256EEEvPT_S5_T3_,@function
_Z16operation_kernelIiLj256ELj4EL23memory_operation_method3E9operationIL16kernel_operation3EiLj4ELj256EEEvPT_S5_T3_: ; @_Z16operation_kernelIiLj256ELj4EL23memory_operation_method3E9operationIL16kernel_operation3EiLj4ELj256EEEvPT_S5_T3_
; %bb.0:
	s_load_dwordx4 s[0:3], s[4:5], 0x0
	s_load_dword s7, s[4:5], 0x24
	s_lshl_b32 s4, s6, 10
	s_mov_b32 s5, 0
	s_lshl_b64 s[4:5], s[4:5], 2
	s_waitcnt lgkmcnt(0)
	s_add_u32 s0, s0, s4
	s_addc_u32 s1, s1, s5
	v_lshlrev_b32_e32 v6, 2, v0
	global_load_dword v2, v6, s[0:1]
	global_load_dword v3, v6, s[0:1] offset:1024
	global_load_dword v4, v6, s[0:1] offset:2048
	;; [unrolled: 1-line block ×3, first 2 shown]
	v_or_b32_e32 v9, 0x100, v0
	v_or_b32_e32 v10, 0x200, v0
	;; [unrolled: 1-line block ×3, first 2 shown]
	s_and_b32 s0, s7, 0xffff
	v_lshrrev_b32_e32 v8, 5, v0
	v_lshrrev_b32_e32 v9, 5, v9
	;; [unrolled: 1-line block ×4, first 2 shown]
	s_mul_i32 s6, s6, s0
	v_mov_b32_e32 v1, 0
	v_lshrrev_b32_e32 v12, 3, v0
	v_add_lshl_u32 v8, v8, v0, 2
	v_add_lshl_u32 v9, v9, v0, 2
	;; [unrolled: 1-line block ×5, first 2 shown]
	v_lshlrev_b64 v[0:1], 2, v[0:1]
	v_mov_b32_e32 v13, s3
	v_add_co_u32_e32 v0, vcc, s2, v0
	v_mov_b32_e32 v7, 0x29a
	v_add_lshl_u32 v12, v12, v6, 2
	v_addc_co_u32_e32 v1, vcc, v13, v1, vcc
	s_add_u32 s0, s2, s4
	s_addc_u32 s1, s3, s5
	s_waitcnt vmcnt(3)
	ds_write_b32 v8, v2
	s_waitcnt vmcnt(2)
	ds_write_b32 v9, v3 offset:1024
	s_waitcnt vmcnt(1)
	ds_write_b32 v10, v4 offset:2048
	;; [unrolled: 2-line block ×3, first 2 shown]
	s_waitcnt lgkmcnt(0)
	s_barrier
	ds_read2_b32 v[2:3], v12 offset1:1
	ds_read2_b32 v[4:5], v12 offset0:2 offset1:3
	global_atomic_add v[0:1], v7, off
	global_atomic_add v[0:1], v7, off offset:4
	global_atomic_add v[0:1], v7, off offset:8
	;; [unrolled: 1-line block ×3, first 2 shown]
	s_waitcnt lgkmcnt(0)
	s_barrier
	ds_write2_b32 v12, v2, v3 offset1:1
	ds_write2_b32 v12, v4, v5 offset0:2 offset1:3
	s_waitcnt lgkmcnt(0)
	s_barrier
	ds_read_b32 v0, v8
	ds_read_b32 v1, v9 offset:1024
	ds_read_b32 v2, v10 offset:2048
	;; [unrolled: 1-line block ×3, first 2 shown]
	s_waitcnt lgkmcnt(3)
	global_store_dword v6, v0, s[0:1]
	s_waitcnt lgkmcnt(2)
	global_store_dword v6, v1, s[0:1] offset:1024
	s_waitcnt lgkmcnt(1)
	global_store_dword v6, v2, s[0:1] offset:2048
	;; [unrolled: 2-line block ×3, first 2 shown]
	s_endpgm
	.section	.rodata,"a",@progbits
	.p2align	6, 0x0
	.amdhsa_kernel _Z16operation_kernelIiLj256ELj4EL23memory_operation_method3E9operationIL16kernel_operation3EiLj4ELj256EEEvPT_S5_T3_
		.amdhsa_group_segment_fixed_size 4224
		.amdhsa_private_segment_fixed_size 0
		.amdhsa_kernarg_size 280
		.amdhsa_user_sgpr_count 6
		.amdhsa_user_sgpr_private_segment_buffer 1
		.amdhsa_user_sgpr_dispatch_ptr 0
		.amdhsa_user_sgpr_queue_ptr 0
		.amdhsa_user_sgpr_kernarg_segment_ptr 1
		.amdhsa_user_sgpr_dispatch_id 0
		.amdhsa_user_sgpr_flat_scratch_init 0
		.amdhsa_user_sgpr_kernarg_preload_length 0
		.amdhsa_user_sgpr_kernarg_preload_offset 0
		.amdhsa_user_sgpr_private_segment_size 0
		.amdhsa_uses_dynamic_stack 0
		.amdhsa_system_sgpr_private_segment_wavefront_offset 0
		.amdhsa_system_sgpr_workgroup_id_x 1
		.amdhsa_system_sgpr_workgroup_id_y 0
		.amdhsa_system_sgpr_workgroup_id_z 0
		.amdhsa_system_sgpr_workgroup_info 0
		.amdhsa_system_vgpr_workitem_id 0
		.amdhsa_next_free_vgpr 14
		.amdhsa_next_free_sgpr 8
		.amdhsa_accum_offset 16
		.amdhsa_reserve_vcc 1
		.amdhsa_reserve_flat_scratch 0
		.amdhsa_float_round_mode_32 0
		.amdhsa_float_round_mode_16_64 0
		.amdhsa_float_denorm_mode_32 3
		.amdhsa_float_denorm_mode_16_64 3
		.amdhsa_dx10_clamp 1
		.amdhsa_ieee_mode 1
		.amdhsa_fp16_overflow 0
		.amdhsa_tg_split 0
		.amdhsa_exception_fp_ieee_invalid_op 0
		.amdhsa_exception_fp_denorm_src 0
		.amdhsa_exception_fp_ieee_div_zero 0
		.amdhsa_exception_fp_ieee_overflow 0
		.amdhsa_exception_fp_ieee_underflow 0
		.amdhsa_exception_fp_ieee_inexact 0
		.amdhsa_exception_int_div_zero 0
	.end_amdhsa_kernel
	.section	.text._Z16operation_kernelIiLj256ELj4EL23memory_operation_method3E9operationIL16kernel_operation3EiLj4ELj256EEEvPT_S5_T3_,"axG",@progbits,_Z16operation_kernelIiLj256ELj4EL23memory_operation_method3E9operationIL16kernel_operation3EiLj4ELj256EEEvPT_S5_T3_,comdat
.Lfunc_end74:
	.size	_Z16operation_kernelIiLj256ELj4EL23memory_operation_method3E9operationIL16kernel_operation3EiLj4ELj256EEEvPT_S5_T3_, .Lfunc_end74-_Z16operation_kernelIiLj256ELj4EL23memory_operation_method3E9operationIL16kernel_operation3EiLj4ELj256EEEvPT_S5_T3_
                                        ; -- End function
	.section	.AMDGPU.csdata,"",@progbits
; Kernel info:
; codeLenInByte = 440
; NumSgprs: 12
; NumVgprs: 14
; NumAgprs: 0
; TotalNumVgprs: 14
; ScratchSize: 0
; MemoryBound: 0
; FloatMode: 240
; IeeeMode: 1
; LDSByteSize: 4224 bytes/workgroup (compile time only)
; SGPRBlocks: 1
; VGPRBlocks: 1
; NumSGPRsForWavesPerEU: 12
; NumVGPRsForWavesPerEU: 14
; AccumOffset: 16
; Occupancy: 8
; WaveLimiterHint : 1
; COMPUTE_PGM_RSRC2:SCRATCH_EN: 0
; COMPUTE_PGM_RSRC2:USER_SGPR: 6
; COMPUTE_PGM_RSRC2:TRAP_HANDLER: 0
; COMPUTE_PGM_RSRC2:TGID_X_EN: 1
; COMPUTE_PGM_RSRC2:TGID_Y_EN: 0
; COMPUTE_PGM_RSRC2:TGID_Z_EN: 0
; COMPUTE_PGM_RSRC2:TIDIG_COMP_CNT: 0
; COMPUTE_PGM_RSRC3_GFX90A:ACCUM_OFFSET: 3
; COMPUTE_PGM_RSRC3_GFX90A:TG_SPLIT: 0
	.section	.text._Z16operation_kernelIiLj256ELj8EL23memory_operation_method3E9operationIL16kernel_operation3EiLj8ELj256EEEvPT_S5_T3_,"axG",@progbits,_Z16operation_kernelIiLj256ELj8EL23memory_operation_method3E9operationIL16kernel_operation3EiLj8ELj256EEEvPT_S5_T3_,comdat
	.protected	_Z16operation_kernelIiLj256ELj8EL23memory_operation_method3E9operationIL16kernel_operation3EiLj8ELj256EEEvPT_S5_T3_ ; -- Begin function _Z16operation_kernelIiLj256ELj8EL23memory_operation_method3E9operationIL16kernel_operation3EiLj8ELj256EEEvPT_S5_T3_
	.globl	_Z16operation_kernelIiLj256ELj8EL23memory_operation_method3E9operationIL16kernel_operation3EiLj8ELj256EEEvPT_S5_T3_
	.p2align	8
	.type	_Z16operation_kernelIiLj256ELj8EL23memory_operation_method3E9operationIL16kernel_operation3EiLj8ELj256EEEvPT_S5_T3_,@function
_Z16operation_kernelIiLj256ELj8EL23memory_operation_method3E9operationIL16kernel_operation3EiLj8ELj256EEEvPT_S5_T3_: ; @_Z16operation_kernelIiLj256ELj8EL23memory_operation_method3E9operationIL16kernel_operation3EiLj8ELj256EEEvPT_S5_T3_
; %bb.0:
	s_load_dwordx4 s[0:3], s[4:5], 0x0
	s_load_dword s7, s[4:5], 0x24
	s_lshl_b32 s4, s6, 11
	s_mov_b32 s5, 0
	s_lshl_b64 s[4:5], s[4:5], 2
	s_waitcnt lgkmcnt(0)
	s_add_u32 s0, s0, s4
	s_addc_u32 s1, s1, s5
	v_lshlrev_b32_e32 v10, 2, v0
	v_mov_b32_e32 v1, s1
	v_add_co_u32_e32 v2, vcc, s0, v10
	v_addc_co_u32_e32 v1, vcc, 0, v1, vcc
	s_movk_i32 s8, 0x1000
	v_add_co_u32_e32 v2, vcc, s8, v2
	v_addc_co_u32_e32 v3, vcc, 0, v1, vcc
	global_load_dword v4, v10, s[0:1]
	global_load_dword v5, v10, s[0:1] offset:1024
	global_load_dword v6, v10, s[0:1] offset:2048
	;; [unrolled: 1-line block ×3, first 2 shown]
	global_load_dword v8, v[2:3], off
	global_load_dword v9, v[2:3], off offset:1024
	global_load_dword v11, v[2:3], off offset:2048
	;; [unrolled: 1-line block ×3, first 2 shown]
	v_lshrrev_b32_e32 v2, 5, v0
	v_or_b32_e32 v3, 0x100, v0
	v_or_b32_e32 v14, 0x200, v0
	;; [unrolled: 1-line block ×7, first 2 shown]
	s_and_b32 s0, s7, 0xffff
	v_lshlrev_b32_e32 v20, 3, v0
	v_lshrrev_b32_e32 v21, 2, v0
	v_add_lshl_u32 v22, v2, v0, 2
	v_lshrrev_b32_e32 v2, 5, v3
	v_lshrrev_b32_e32 v3, 5, v14
	;; [unrolled: 1-line block ×7, first 2 shown]
	s_mul_i32 s6, s6, s0
	v_mov_b32_e32 v1, 0
	v_add_lshl_u32 v19, v21, v20, 2
	v_add_lshl_u32 v20, v2, v0, 2
	;; [unrolled: 1-line block ×9, first 2 shown]
	v_lshlrev_b64 v[0:1], 2, v[0:1]
	v_mov_b32_e32 v2, s3
	v_add_co_u32_e32 v0, vcc, s2, v0
	v_mov_b32_e32 v13, 0x29a
	v_addc_co_u32_e32 v1, vcc, v2, v1, vcc
	s_add_u32 s0, s2, s4
	s_addc_u32 s1, s3, s5
	s_waitcnt vmcnt(7)
	ds_write_b32 v22, v4
	s_waitcnt vmcnt(6)
	ds_write_b32 v20, v5 offset:1024
	s_waitcnt vmcnt(5)
	ds_write_b32 v21, v6 offset:2048
	;; [unrolled: 2-line block ×7, first 2 shown]
	s_waitcnt lgkmcnt(0)
	s_barrier
	ds_read2_b32 v[2:3], v19 offset1:1
	ds_read2_b32 v[4:5], v19 offset0:2 offset1:3
	ds_read2_b32 v[6:7], v19 offset0:4 offset1:5
	;; [unrolled: 1-line block ×3, first 2 shown]
	global_atomic_add v[0:1], v13, off
	global_atomic_add v[0:1], v13, off offset:4
	global_atomic_add v[0:1], v13, off offset:8
	global_atomic_add v[0:1], v13, off offset:12
	global_atomic_add v[0:1], v13, off offset:16
	global_atomic_add v[0:1], v13, off offset:20
	global_atomic_add v[0:1], v13, off offset:24
	global_atomic_add v[0:1], v13, off offset:28
	s_waitcnt lgkmcnt(0)
	s_barrier
	ds_write2_b32 v19, v2, v3 offset1:1
	ds_write2_b32 v19, v4, v5 offset0:2 offset1:3
	ds_write2_b32 v19, v6, v7 offset0:4 offset1:5
	ds_write2_b32 v19, v8, v9 offset0:6 offset1:7
	s_waitcnt lgkmcnt(0)
	s_barrier
	ds_read_b32 v0, v22
	ds_read_b32 v1, v20 offset:1024
	ds_read_b32 v2, v21 offset:2048
	;; [unrolled: 1-line block ×7, first 2 shown]
	v_mov_b32_e32 v8, s1
	v_add_co_u32_e32 v9, vcc, s0, v10
	v_addc_co_u32_e32 v8, vcc, 0, v8, vcc
	s_waitcnt lgkmcnt(7)
	global_store_dword v10, v0, s[0:1]
	s_waitcnt lgkmcnt(6)
	global_store_dword v10, v1, s[0:1] offset:1024
	s_waitcnt lgkmcnt(5)
	global_store_dword v10, v2, s[0:1] offset:2048
	;; [unrolled: 2-line block ×3, first 2 shown]
	v_add_co_u32_e32 v0, vcc, 0x1000, v9
	v_addc_co_u32_e32 v1, vcc, 0, v8, vcc
	s_waitcnt lgkmcnt(3)
	global_store_dword v[0:1], v4, off
	s_waitcnt lgkmcnt(2)
	global_store_dword v[0:1], v5, off offset:1024
	s_waitcnt lgkmcnt(1)
	global_store_dword v[0:1], v6, off offset:2048
	;; [unrolled: 2-line block ×3, first 2 shown]
	s_endpgm
	.section	.rodata,"a",@progbits
	.p2align	6, 0x0
	.amdhsa_kernel _Z16operation_kernelIiLj256ELj8EL23memory_operation_method3E9operationIL16kernel_operation3EiLj8ELj256EEEvPT_S5_T3_
		.amdhsa_group_segment_fixed_size 8448
		.amdhsa_private_segment_fixed_size 0
		.amdhsa_kernarg_size 280
		.amdhsa_user_sgpr_count 6
		.amdhsa_user_sgpr_private_segment_buffer 1
		.amdhsa_user_sgpr_dispatch_ptr 0
		.amdhsa_user_sgpr_queue_ptr 0
		.amdhsa_user_sgpr_kernarg_segment_ptr 1
		.amdhsa_user_sgpr_dispatch_id 0
		.amdhsa_user_sgpr_flat_scratch_init 0
		.amdhsa_user_sgpr_kernarg_preload_length 0
		.amdhsa_user_sgpr_kernarg_preload_offset 0
		.amdhsa_user_sgpr_private_segment_size 0
		.amdhsa_uses_dynamic_stack 0
		.amdhsa_system_sgpr_private_segment_wavefront_offset 0
		.amdhsa_system_sgpr_workgroup_id_x 1
		.amdhsa_system_sgpr_workgroup_id_y 0
		.amdhsa_system_sgpr_workgroup_id_z 0
		.amdhsa_system_sgpr_workgroup_info 0
		.amdhsa_system_vgpr_workitem_id 0
		.amdhsa_next_free_vgpr 23
		.amdhsa_next_free_sgpr 9
		.amdhsa_accum_offset 24
		.amdhsa_reserve_vcc 1
		.amdhsa_reserve_flat_scratch 0
		.amdhsa_float_round_mode_32 0
		.amdhsa_float_round_mode_16_64 0
		.amdhsa_float_denorm_mode_32 3
		.amdhsa_float_denorm_mode_16_64 3
		.amdhsa_dx10_clamp 1
		.amdhsa_ieee_mode 1
		.amdhsa_fp16_overflow 0
		.amdhsa_tg_split 0
		.amdhsa_exception_fp_ieee_invalid_op 0
		.amdhsa_exception_fp_denorm_src 0
		.amdhsa_exception_fp_ieee_div_zero 0
		.amdhsa_exception_fp_ieee_overflow 0
		.amdhsa_exception_fp_ieee_underflow 0
		.amdhsa_exception_fp_ieee_inexact 0
		.amdhsa_exception_int_div_zero 0
	.end_amdhsa_kernel
	.section	.text._Z16operation_kernelIiLj256ELj8EL23memory_operation_method3E9operationIL16kernel_operation3EiLj8ELj256EEEvPT_S5_T3_,"axG",@progbits,_Z16operation_kernelIiLj256ELj8EL23memory_operation_method3E9operationIL16kernel_operation3EiLj8ELj256EEEvPT_S5_T3_,comdat
.Lfunc_end75:
	.size	_Z16operation_kernelIiLj256ELj8EL23memory_operation_method3E9operationIL16kernel_operation3EiLj8ELj256EEEvPT_S5_T3_, .Lfunc_end75-_Z16operation_kernelIiLj256ELj8EL23memory_operation_method3E9operationIL16kernel_operation3EiLj8ELj256EEEvPT_S5_T3_
                                        ; -- End function
	.section	.AMDGPU.csdata,"",@progbits
; Kernel info:
; codeLenInByte = 796
; NumSgprs: 13
; NumVgprs: 23
; NumAgprs: 0
; TotalNumVgprs: 23
; ScratchSize: 0
; MemoryBound: 0
; FloatMode: 240
; IeeeMode: 1
; LDSByteSize: 8448 bytes/workgroup (compile time only)
; SGPRBlocks: 1
; VGPRBlocks: 2
; NumSGPRsForWavesPerEU: 13
; NumVGPRsForWavesPerEU: 23
; AccumOffset: 24
; Occupancy: 7
; WaveLimiterHint : 1
; COMPUTE_PGM_RSRC2:SCRATCH_EN: 0
; COMPUTE_PGM_RSRC2:USER_SGPR: 6
; COMPUTE_PGM_RSRC2:TRAP_HANDLER: 0
; COMPUTE_PGM_RSRC2:TGID_X_EN: 1
; COMPUTE_PGM_RSRC2:TGID_Y_EN: 0
; COMPUTE_PGM_RSRC2:TGID_Z_EN: 0
; COMPUTE_PGM_RSRC2:TIDIG_COMP_CNT: 0
; COMPUTE_PGM_RSRC3_GFX90A:ACCUM_OFFSET: 5
; COMPUTE_PGM_RSRC3_GFX90A:TG_SPLIT: 0
	.section	.text._Z16operation_kernelIiLj256ELj1EL23memory_operation_method4E9operationIL16kernel_operation3EiLj1ELj256EEEvPT_S5_T3_,"axG",@progbits,_Z16operation_kernelIiLj256ELj1EL23memory_operation_method4E9operationIL16kernel_operation3EiLj1ELj256EEEvPT_S5_T3_,comdat
	.protected	_Z16operation_kernelIiLj256ELj1EL23memory_operation_method4E9operationIL16kernel_operation3EiLj1ELj256EEEvPT_S5_T3_ ; -- Begin function _Z16operation_kernelIiLj256ELj1EL23memory_operation_method4E9operationIL16kernel_operation3EiLj1ELj256EEEvPT_S5_T3_
	.globl	_Z16operation_kernelIiLj256ELj1EL23memory_operation_method4E9operationIL16kernel_operation3EiLj1ELj256EEEvPT_S5_T3_
	.p2align	8
	.type	_Z16operation_kernelIiLj256ELj1EL23memory_operation_method4E9operationIL16kernel_operation3EiLj1ELj256EEEvPT_S5_T3_,@function
_Z16operation_kernelIiLj256ELj1EL23memory_operation_method4E9operationIL16kernel_operation3EiLj1ELj256EEEvPT_S5_T3_: ; @_Z16operation_kernelIiLj256ELj1EL23memory_operation_method4E9operationIL16kernel_operation3EiLj1ELj256EEEvPT_S5_T3_
; %bb.0:
	s_load_dwordx4 s[0:3], s[4:5], 0x0
	s_load_dword s7, s[4:5], 0x24
	s_lshl_b32 s4, s6, 8
	s_mov_b32 s5, 0
	s_lshl_b64 s[4:5], s[4:5], 2
	v_mbcnt_lo_u32_b32 v1, -1, 0
	s_waitcnt lgkmcnt(0)
	s_add_u32 s0, s0, s4
	v_mbcnt_hi_u32_b32 v4, -1, v1
	s_addc_u32 s1, s1, s5
	v_lshlrev_b32_e32 v6, 2, v4
	v_and_b32_e32 v5, 0xc0, v0
	v_mov_b32_e32 v1, s1
	v_add_co_u32_e32 v2, vcc, s0, v6
	v_addc_co_u32_e32 v1, vcc, 0, v1, vcc
	v_lshlrev_b32_e32 v7, 2, v5
	v_add_co_u32_e32 v2, vcc, v2, v7
	v_addc_co_u32_e32 v3, vcc, 0, v1, vcc
	global_load_dword v2, v[2:3], off
	s_and_b32 s0, s7, 0xffff
	s_mul_i32 s6, s6, s0
	v_mov_b32_e32 v1, 0
	v_add_u32_e32 v0, s6, v0
	v_lshlrev_b64 v[0:1], 2, v[0:1]
	v_add_lshl_u32 v4, v4, v5, 2
	v_mov_b32_e32 v5, s3
	v_add_co_u32_e32 v0, vcc, s2, v0
	v_mov_b32_e32 v3, 0x29a
	v_addc_co_u32_e32 v1, vcc, v5, v1, vcc
	s_add_u32 s0, s2, s4
	s_addc_u32 s1, s3, s5
	s_waitcnt vmcnt(0)
	ds_write_b32 v4, v2
	; wave barrier
	ds_read_b32 v2, v4
	global_atomic_add v[0:1], v3, off
	s_waitcnt lgkmcnt(0)
	s_barrier
	ds_write_b32 v4, v2
	; wave barrier
	ds_read_b32 v2, v4
	v_mov_b32_e32 v0, s1
	v_add_co_u32_e32 v1, vcc, s0, v6
	v_addc_co_u32_e32 v3, vcc, 0, v0, vcc
	v_add_co_u32_e32 v0, vcc, v1, v7
	v_addc_co_u32_e32 v1, vcc, 0, v3, vcc
	s_waitcnt lgkmcnt(0)
	global_store_dword v[0:1], v2, off
	s_endpgm
	.section	.rodata,"a",@progbits
	.p2align	6, 0x0
	.amdhsa_kernel _Z16operation_kernelIiLj256ELj1EL23memory_operation_method4E9operationIL16kernel_operation3EiLj1ELj256EEEvPT_S5_T3_
		.amdhsa_group_segment_fixed_size 1024
		.amdhsa_private_segment_fixed_size 0
		.amdhsa_kernarg_size 280
		.amdhsa_user_sgpr_count 6
		.amdhsa_user_sgpr_private_segment_buffer 1
		.amdhsa_user_sgpr_dispatch_ptr 0
		.amdhsa_user_sgpr_queue_ptr 0
		.amdhsa_user_sgpr_kernarg_segment_ptr 1
		.amdhsa_user_sgpr_dispatch_id 0
		.amdhsa_user_sgpr_flat_scratch_init 0
		.amdhsa_user_sgpr_kernarg_preload_length 0
		.amdhsa_user_sgpr_kernarg_preload_offset 0
		.amdhsa_user_sgpr_private_segment_size 0
		.amdhsa_uses_dynamic_stack 0
		.amdhsa_system_sgpr_private_segment_wavefront_offset 0
		.amdhsa_system_sgpr_workgroup_id_x 1
		.amdhsa_system_sgpr_workgroup_id_y 0
		.amdhsa_system_sgpr_workgroup_id_z 0
		.amdhsa_system_sgpr_workgroup_info 0
		.amdhsa_system_vgpr_workitem_id 0
		.amdhsa_next_free_vgpr 8
		.amdhsa_next_free_sgpr 8
		.amdhsa_accum_offset 8
		.amdhsa_reserve_vcc 1
		.amdhsa_reserve_flat_scratch 0
		.amdhsa_float_round_mode_32 0
		.amdhsa_float_round_mode_16_64 0
		.amdhsa_float_denorm_mode_32 3
		.amdhsa_float_denorm_mode_16_64 3
		.amdhsa_dx10_clamp 1
		.amdhsa_ieee_mode 1
		.amdhsa_fp16_overflow 0
		.amdhsa_tg_split 0
		.amdhsa_exception_fp_ieee_invalid_op 0
		.amdhsa_exception_fp_denorm_src 0
		.amdhsa_exception_fp_ieee_div_zero 0
		.amdhsa_exception_fp_ieee_overflow 0
		.amdhsa_exception_fp_ieee_underflow 0
		.amdhsa_exception_fp_ieee_inexact 0
		.amdhsa_exception_int_div_zero 0
	.end_amdhsa_kernel
	.section	.text._Z16operation_kernelIiLj256ELj1EL23memory_operation_method4E9operationIL16kernel_operation3EiLj1ELj256EEEvPT_S5_T3_,"axG",@progbits,_Z16operation_kernelIiLj256ELj1EL23memory_operation_method4E9operationIL16kernel_operation3EiLj1ELj256EEEvPT_S5_T3_,comdat
.Lfunc_end76:
	.size	_Z16operation_kernelIiLj256ELj1EL23memory_operation_method4E9operationIL16kernel_operation3EiLj1ELj256EEEvPT_S5_T3_, .Lfunc_end76-_Z16operation_kernelIiLj256ELj1EL23memory_operation_method4E9operationIL16kernel_operation3EiLj1ELj256EEEvPT_S5_T3_
                                        ; -- End function
	.section	.AMDGPU.csdata,"",@progbits
; Kernel info:
; codeLenInByte = 252
; NumSgprs: 12
; NumVgprs: 8
; NumAgprs: 0
; TotalNumVgprs: 8
; ScratchSize: 0
; MemoryBound: 0
; FloatMode: 240
; IeeeMode: 1
; LDSByteSize: 1024 bytes/workgroup (compile time only)
; SGPRBlocks: 1
; VGPRBlocks: 0
; NumSGPRsForWavesPerEU: 12
; NumVGPRsForWavesPerEU: 8
; AccumOffset: 8
; Occupancy: 8
; WaveLimiterHint : 0
; COMPUTE_PGM_RSRC2:SCRATCH_EN: 0
; COMPUTE_PGM_RSRC2:USER_SGPR: 6
; COMPUTE_PGM_RSRC2:TRAP_HANDLER: 0
; COMPUTE_PGM_RSRC2:TGID_X_EN: 1
; COMPUTE_PGM_RSRC2:TGID_Y_EN: 0
; COMPUTE_PGM_RSRC2:TGID_Z_EN: 0
; COMPUTE_PGM_RSRC2:TIDIG_COMP_CNT: 0
; COMPUTE_PGM_RSRC3_GFX90A:ACCUM_OFFSET: 1
; COMPUTE_PGM_RSRC3_GFX90A:TG_SPLIT: 0
	.section	.text._Z16operation_kernelIiLj256ELj2EL23memory_operation_method4E9operationIL16kernel_operation3EiLj2ELj256EEEvPT_S5_T3_,"axG",@progbits,_Z16operation_kernelIiLj256ELj2EL23memory_operation_method4E9operationIL16kernel_operation3EiLj2ELj256EEEvPT_S5_T3_,comdat
	.protected	_Z16operation_kernelIiLj256ELj2EL23memory_operation_method4E9operationIL16kernel_operation3EiLj2ELj256EEEvPT_S5_T3_ ; -- Begin function _Z16operation_kernelIiLj256ELj2EL23memory_operation_method4E9operationIL16kernel_operation3EiLj2ELj256EEEvPT_S5_T3_
	.globl	_Z16operation_kernelIiLj256ELj2EL23memory_operation_method4E9operationIL16kernel_operation3EiLj2ELj256EEEvPT_S5_T3_
	.p2align	8
	.type	_Z16operation_kernelIiLj256ELj2EL23memory_operation_method4E9operationIL16kernel_operation3EiLj2ELj256EEEvPT_S5_T3_,@function
_Z16operation_kernelIiLj256ELj2EL23memory_operation_method4E9operationIL16kernel_operation3EiLj2ELj256EEEvPT_S5_T3_: ; @_Z16operation_kernelIiLj256ELj2EL23memory_operation_method4E9operationIL16kernel_operation3EiLj2ELj256EEEvPT_S5_T3_
; %bb.0:
	s_load_dwordx4 s[0:3], s[4:5], 0x0
	s_load_dword s7, s[4:5], 0x24
	s_lshl_b32 s4, s6, 9
	s_mov_b32 s5, 0
	s_lshl_b64 s[4:5], s[4:5], 2
	v_mbcnt_lo_u32_b32 v1, -1, 0
	s_waitcnt lgkmcnt(0)
	s_add_u32 s0, s0, s4
	v_mbcnt_hi_u32_b32 v4, -1, v1
	s_addc_u32 s1, s1, s5
	v_lshlrev_b32_e32 v1, 1, v0
	v_lshlrev_b32_e32 v6, 2, v4
	v_and_b32_e32 v5, 0x180, v1
	v_mov_b32_e32 v1, s1
	v_add_co_u32_e32 v2, vcc, s0, v6
	v_addc_co_u32_e32 v1, vcc, 0, v1, vcc
	v_lshlrev_b32_e32 v7, 2, v5
	v_add_co_u32_e32 v2, vcc, v2, v7
	v_addc_co_u32_e32 v3, vcc, 0, v1, vcc
	global_load_dword v8, v[2:3], off
	global_load_dword v9, v[2:3], off offset:256
	v_and_b32_e32 v2, 0xc0, v0
	s_and_b32 s0, s7, 0xffff
	v_add_u32_e32 v2, v4, v2
	v_or_b32_e32 v3, v4, v5
	s_mul_i32 s6, s6, s0
	v_mov_b32_e32 v1, 0
	v_lshlrev_b32_e32 v4, 1, v2
	v_bfe_u32 v2, v2, 4, 27
	v_add_u32_e32 v11, 64, v3
	v_add_lshl_u32 v0, s6, v0, 1
	v_add_lshl_u32 v4, v2, v4, 2
	v_lshrrev_b32_e32 v2, 5, v11
	v_lshlrev_b64 v[0:1], 2, v[0:1]
	v_lshrrev_b32_e32 v5, 5, v3
	v_add_lshl_u32 v11, v2, v11, 2
	v_mov_b32_e32 v2, s3
	v_add_co_u32_e32 v0, vcc, s2, v0
	v_mov_b32_e32 v10, 0x29a
	v_add_lshl_u32 v5, v5, v3, 2
	v_addc_co_u32_e32 v1, vcc, v2, v1, vcc
	s_add_u32 s0, s2, s4
	s_addc_u32 s1, s3, s5
	s_waitcnt vmcnt(1)
	ds_write_b32 v5, v8
	s_waitcnt vmcnt(0)
	ds_write_b32 v11, v9
	; wave barrier
	ds_read2_b32 v[2:3], v4 offset1:1
	global_atomic_add v[0:1], v10, off
	global_atomic_add v[0:1], v10, off offset:4
	s_waitcnt lgkmcnt(0)
	s_barrier
	ds_write2_b32 v4, v2, v3 offset1:1
	; wave barrier
	ds_read_b32 v2, v5
	ds_read_b32 v3, v11
	v_mov_b32_e32 v0, s1
	v_add_co_u32_e32 v1, vcc, s0, v6
	v_addc_co_u32_e32 v4, vcc, 0, v0, vcc
	v_add_co_u32_e32 v0, vcc, v1, v7
	v_addc_co_u32_e32 v1, vcc, 0, v4, vcc
	s_waitcnt lgkmcnt(1)
	global_store_dword v[0:1], v2, off
	s_waitcnt lgkmcnt(0)
	global_store_dword v[0:1], v3, off offset:256
	s_endpgm
	.section	.rodata,"a",@progbits
	.p2align	6, 0x0
	.amdhsa_kernel _Z16operation_kernelIiLj256ELj2EL23memory_operation_method4E9operationIL16kernel_operation3EiLj2ELj256EEEvPT_S5_T3_
		.amdhsa_group_segment_fixed_size 2112
		.amdhsa_private_segment_fixed_size 0
		.amdhsa_kernarg_size 280
		.amdhsa_user_sgpr_count 6
		.amdhsa_user_sgpr_private_segment_buffer 1
		.amdhsa_user_sgpr_dispatch_ptr 0
		.amdhsa_user_sgpr_queue_ptr 0
		.amdhsa_user_sgpr_kernarg_segment_ptr 1
		.amdhsa_user_sgpr_dispatch_id 0
		.amdhsa_user_sgpr_flat_scratch_init 0
		.amdhsa_user_sgpr_kernarg_preload_length 0
		.amdhsa_user_sgpr_kernarg_preload_offset 0
		.amdhsa_user_sgpr_private_segment_size 0
		.amdhsa_uses_dynamic_stack 0
		.amdhsa_system_sgpr_private_segment_wavefront_offset 0
		.amdhsa_system_sgpr_workgroup_id_x 1
		.amdhsa_system_sgpr_workgroup_id_y 0
		.amdhsa_system_sgpr_workgroup_id_z 0
		.amdhsa_system_sgpr_workgroup_info 0
		.amdhsa_system_vgpr_workitem_id 0
		.amdhsa_next_free_vgpr 12
		.amdhsa_next_free_sgpr 8
		.amdhsa_accum_offset 12
		.amdhsa_reserve_vcc 1
		.amdhsa_reserve_flat_scratch 0
		.amdhsa_float_round_mode_32 0
		.amdhsa_float_round_mode_16_64 0
		.amdhsa_float_denorm_mode_32 3
		.amdhsa_float_denorm_mode_16_64 3
		.amdhsa_dx10_clamp 1
		.amdhsa_ieee_mode 1
		.amdhsa_fp16_overflow 0
		.amdhsa_tg_split 0
		.amdhsa_exception_fp_ieee_invalid_op 0
		.amdhsa_exception_fp_denorm_src 0
		.amdhsa_exception_fp_ieee_div_zero 0
		.amdhsa_exception_fp_ieee_overflow 0
		.amdhsa_exception_fp_ieee_underflow 0
		.amdhsa_exception_fp_ieee_inexact 0
		.amdhsa_exception_int_div_zero 0
	.end_amdhsa_kernel
	.section	.text._Z16operation_kernelIiLj256ELj2EL23memory_operation_method4E9operationIL16kernel_operation3EiLj2ELj256EEEvPT_S5_T3_,"axG",@progbits,_Z16operation_kernelIiLj256ELj2EL23memory_operation_method4E9operationIL16kernel_operation3EiLj2ELj256EEEvPT_S5_T3_,comdat
.Lfunc_end77:
	.size	_Z16operation_kernelIiLj256ELj2EL23memory_operation_method4E9operationIL16kernel_operation3EiLj2ELj256EEEvPT_S5_T3_, .Lfunc_end77-_Z16operation_kernelIiLj256ELj2EL23memory_operation_method4E9operationIL16kernel_operation3EiLj2ELj256EEEvPT_S5_T3_
                                        ; -- End function
	.section	.AMDGPU.csdata,"",@progbits
; Kernel info:
; codeLenInByte = 364
; NumSgprs: 12
; NumVgprs: 12
; NumAgprs: 0
; TotalNumVgprs: 12
; ScratchSize: 0
; MemoryBound: 0
; FloatMode: 240
; IeeeMode: 1
; LDSByteSize: 2112 bytes/workgroup (compile time only)
; SGPRBlocks: 1
; VGPRBlocks: 1
; NumSGPRsForWavesPerEU: 12
; NumVGPRsForWavesPerEU: 12
; AccumOffset: 12
; Occupancy: 8
; WaveLimiterHint : 1
; COMPUTE_PGM_RSRC2:SCRATCH_EN: 0
; COMPUTE_PGM_RSRC2:USER_SGPR: 6
; COMPUTE_PGM_RSRC2:TRAP_HANDLER: 0
; COMPUTE_PGM_RSRC2:TGID_X_EN: 1
; COMPUTE_PGM_RSRC2:TGID_Y_EN: 0
; COMPUTE_PGM_RSRC2:TGID_Z_EN: 0
; COMPUTE_PGM_RSRC2:TIDIG_COMP_CNT: 0
; COMPUTE_PGM_RSRC3_GFX90A:ACCUM_OFFSET: 2
; COMPUTE_PGM_RSRC3_GFX90A:TG_SPLIT: 0
	.section	.text._Z16operation_kernelIiLj256ELj4EL23memory_operation_method4E9operationIL16kernel_operation3EiLj4ELj256EEEvPT_S5_T3_,"axG",@progbits,_Z16operation_kernelIiLj256ELj4EL23memory_operation_method4E9operationIL16kernel_operation3EiLj4ELj256EEEvPT_S5_T3_,comdat
	.protected	_Z16operation_kernelIiLj256ELj4EL23memory_operation_method4E9operationIL16kernel_operation3EiLj4ELj256EEEvPT_S5_T3_ ; -- Begin function _Z16operation_kernelIiLj256ELj4EL23memory_operation_method4E9operationIL16kernel_operation3EiLj4ELj256EEEvPT_S5_T3_
	.globl	_Z16operation_kernelIiLj256ELj4EL23memory_operation_method4E9operationIL16kernel_operation3EiLj4ELj256EEEvPT_S5_T3_
	.p2align	8
	.type	_Z16operation_kernelIiLj256ELj4EL23memory_operation_method4E9operationIL16kernel_operation3EiLj4ELj256EEEvPT_S5_T3_,@function
_Z16operation_kernelIiLj256ELj4EL23memory_operation_method4E9operationIL16kernel_operation3EiLj4ELj256EEEvPT_S5_T3_: ; @_Z16operation_kernelIiLj256ELj4EL23memory_operation_method4E9operationIL16kernel_operation3EiLj4ELj256EEEvPT_S5_T3_
; %bb.0:
	s_load_dwordx4 s[0:3], s[4:5], 0x0
	s_load_dword s7, s[4:5], 0x24
	s_lshl_b32 s4, s6, 10
	s_mov_b32 s5, 0
	s_lshl_b64 s[4:5], s[4:5], 2
	v_mbcnt_lo_u32_b32 v1, -1, 0
	s_waitcnt lgkmcnt(0)
	s_add_u32 s0, s0, s4
	v_mbcnt_hi_u32_b32 v4, -1, v1
	s_addc_u32 s1, s1, s5
	v_lshlrev_b32_e32 v1, 2, v0
	v_lshlrev_b32_e32 v6, 2, v4
	v_and_b32_e32 v5, 0x300, v1
	v_mov_b32_e32 v1, s1
	v_add_co_u32_e32 v2, vcc, s0, v6
	v_addc_co_u32_e32 v1, vcc, 0, v1, vcc
	v_lshlrev_b32_e32 v7, 2, v5
	v_add_co_u32_e32 v2, vcc, v2, v7
	v_addc_co_u32_e32 v3, vcc, 0, v1, vcc
	global_load_dword v8, v[2:3], off
	global_load_dword v9, v[2:3], off offset:256
	global_load_dword v10, v[2:3], off offset:512
	;; [unrolled: 1-line block ×3, first 2 shown]
	v_and_b32_e32 v2, 0xc0, v0
	s_and_b32 s0, s7, 0xffff
	v_add_u32_e32 v2, v4, v2
	v_or_b32_e32 v3, v4, v5
	s_mul_i32 s6, s6, s0
	v_mov_b32_e32 v1, 0
	v_lshlrev_b32_e32 v4, 2, v2
	v_bfe_u32 v2, v2, 3, 27
	v_add_u32_e32 v13, 64, v3
	v_add_lshl_u32 v0, s6, v0, 2
	v_add_lshl_u32 v16, v2, v4, 2
	v_lshrrev_b32_e32 v2, 5, v13
	v_lshlrev_b64 v[0:1], 2, v[0:1]
	v_lshrrev_b32_e32 v5, 5, v3
	v_or_b32_e32 v14, 0x80, v3
	v_add_u32_e32 v15, 0xc0, v3
	v_add_lshl_u32 v13, v2, v13, 2
	v_mov_b32_e32 v2, s3
	v_add_co_u32_e32 v0, vcc, s2, v0
	v_mov_b32_e32 v12, 0x29a
	v_add_lshl_u32 v17, v5, v3, 2
	v_lshrrev_b32_e32 v3, 5, v14
	v_lshrrev_b32_e32 v4, 5, v15
	v_addc_co_u32_e32 v1, vcc, v2, v1, vcc
	v_add_lshl_u32 v14, v3, v14, 2
	v_add_lshl_u32 v15, v4, v15, 2
	s_add_u32 s0, s2, s4
	s_addc_u32 s1, s3, s5
	s_waitcnt vmcnt(3)
	ds_write_b32 v17, v8
	s_waitcnt vmcnt(2)
	ds_write_b32 v13, v9
	s_waitcnt vmcnt(1)
	ds_write_b32 v14, v10
	s_waitcnt vmcnt(0)
	ds_write_b32 v15, v11
	; wave barrier
	ds_read2_b32 v[2:3], v16 offset1:1
	ds_read2_b32 v[4:5], v16 offset0:2 offset1:3
	global_atomic_add v[0:1], v12, off
	global_atomic_add v[0:1], v12, off offset:4
	global_atomic_add v[0:1], v12, off offset:8
	;; [unrolled: 1-line block ×3, first 2 shown]
	s_waitcnt lgkmcnt(0)
	s_barrier
	ds_write2_b32 v16, v2, v3 offset1:1
	ds_write2_b32 v16, v4, v5 offset0:2 offset1:3
	; wave barrier
	ds_read_b32 v2, v17
	ds_read_b32 v3, v13
	ds_read_b32 v4, v14
	ds_read_b32 v5, v15
	v_mov_b32_e32 v0, s1
	v_add_co_u32_e32 v1, vcc, s0, v6
	v_addc_co_u32_e32 v6, vcc, 0, v0, vcc
	v_add_co_u32_e32 v0, vcc, v1, v7
	v_addc_co_u32_e32 v1, vcc, 0, v6, vcc
	s_waitcnt lgkmcnt(3)
	global_store_dword v[0:1], v2, off
	s_waitcnt lgkmcnt(2)
	global_store_dword v[0:1], v3, off offset:256
	s_waitcnt lgkmcnt(1)
	global_store_dword v[0:1], v4, off offset:512
	;; [unrolled: 2-line block ×3, first 2 shown]
	s_endpgm
	.section	.rodata,"a",@progbits
	.p2align	6, 0x0
	.amdhsa_kernel _Z16operation_kernelIiLj256ELj4EL23memory_operation_method4E9operationIL16kernel_operation3EiLj4ELj256EEEvPT_S5_T3_
		.amdhsa_group_segment_fixed_size 4224
		.amdhsa_private_segment_fixed_size 0
		.amdhsa_kernarg_size 280
		.amdhsa_user_sgpr_count 6
		.amdhsa_user_sgpr_private_segment_buffer 1
		.amdhsa_user_sgpr_dispatch_ptr 0
		.amdhsa_user_sgpr_queue_ptr 0
		.amdhsa_user_sgpr_kernarg_segment_ptr 1
		.amdhsa_user_sgpr_dispatch_id 0
		.amdhsa_user_sgpr_flat_scratch_init 0
		.amdhsa_user_sgpr_kernarg_preload_length 0
		.amdhsa_user_sgpr_kernarg_preload_offset 0
		.amdhsa_user_sgpr_private_segment_size 0
		.amdhsa_uses_dynamic_stack 0
		.amdhsa_system_sgpr_private_segment_wavefront_offset 0
		.amdhsa_system_sgpr_workgroup_id_x 1
		.amdhsa_system_sgpr_workgroup_id_y 0
		.amdhsa_system_sgpr_workgroup_id_z 0
		.amdhsa_system_sgpr_workgroup_info 0
		.amdhsa_system_vgpr_workitem_id 0
		.amdhsa_next_free_vgpr 18
		.amdhsa_next_free_sgpr 8
		.amdhsa_accum_offset 20
		.amdhsa_reserve_vcc 1
		.amdhsa_reserve_flat_scratch 0
		.amdhsa_float_round_mode_32 0
		.amdhsa_float_round_mode_16_64 0
		.amdhsa_float_denorm_mode_32 3
		.amdhsa_float_denorm_mode_16_64 3
		.amdhsa_dx10_clamp 1
		.amdhsa_ieee_mode 1
		.amdhsa_fp16_overflow 0
		.amdhsa_tg_split 0
		.amdhsa_exception_fp_ieee_invalid_op 0
		.amdhsa_exception_fp_denorm_src 0
		.amdhsa_exception_fp_ieee_div_zero 0
		.amdhsa_exception_fp_ieee_overflow 0
		.amdhsa_exception_fp_ieee_underflow 0
		.amdhsa_exception_fp_ieee_inexact 0
		.amdhsa_exception_int_div_zero 0
	.end_amdhsa_kernel
	.section	.text._Z16operation_kernelIiLj256ELj4EL23memory_operation_method4E9operationIL16kernel_operation3EiLj4ELj256EEEvPT_S5_T3_,"axG",@progbits,_Z16operation_kernelIiLj256ELj4EL23memory_operation_method4E9operationIL16kernel_operation3EiLj4ELj256EEEvPT_S5_T3_,comdat
.Lfunc_end78:
	.size	_Z16operation_kernelIiLj256ELj4EL23memory_operation_method4E9operationIL16kernel_operation3EiLj4ELj256EEEvPT_S5_T3_, .Lfunc_end78-_Z16operation_kernelIiLj256ELj4EL23memory_operation_method4E9operationIL16kernel_operation3EiLj4ELj256EEEvPT_S5_T3_
                                        ; -- End function
	.section	.AMDGPU.csdata,"",@progbits
; Kernel info:
; codeLenInByte = 516
; NumSgprs: 12
; NumVgprs: 18
; NumAgprs: 0
; TotalNumVgprs: 18
; ScratchSize: 0
; MemoryBound: 0
; FloatMode: 240
; IeeeMode: 1
; LDSByteSize: 4224 bytes/workgroup (compile time only)
; SGPRBlocks: 1
; VGPRBlocks: 2
; NumSGPRsForWavesPerEU: 12
; NumVGPRsForWavesPerEU: 18
; AccumOffset: 20
; Occupancy: 8
; WaveLimiterHint : 1
; COMPUTE_PGM_RSRC2:SCRATCH_EN: 0
; COMPUTE_PGM_RSRC2:USER_SGPR: 6
; COMPUTE_PGM_RSRC2:TRAP_HANDLER: 0
; COMPUTE_PGM_RSRC2:TGID_X_EN: 1
; COMPUTE_PGM_RSRC2:TGID_Y_EN: 0
; COMPUTE_PGM_RSRC2:TGID_Z_EN: 0
; COMPUTE_PGM_RSRC2:TIDIG_COMP_CNT: 0
; COMPUTE_PGM_RSRC3_GFX90A:ACCUM_OFFSET: 4
; COMPUTE_PGM_RSRC3_GFX90A:TG_SPLIT: 0
	.section	.text._Z16operation_kernelIiLj256ELj8EL23memory_operation_method4E9operationIL16kernel_operation3EiLj8ELj256EEEvPT_S5_T3_,"axG",@progbits,_Z16operation_kernelIiLj256ELj8EL23memory_operation_method4E9operationIL16kernel_operation3EiLj8ELj256EEEvPT_S5_T3_,comdat
	.protected	_Z16operation_kernelIiLj256ELj8EL23memory_operation_method4E9operationIL16kernel_operation3EiLj8ELj256EEEvPT_S5_T3_ ; -- Begin function _Z16operation_kernelIiLj256ELj8EL23memory_operation_method4E9operationIL16kernel_operation3EiLj8ELj256EEEvPT_S5_T3_
	.globl	_Z16operation_kernelIiLj256ELj8EL23memory_operation_method4E9operationIL16kernel_operation3EiLj8ELj256EEEvPT_S5_T3_
	.p2align	8
	.type	_Z16operation_kernelIiLj256ELj8EL23memory_operation_method4E9operationIL16kernel_operation3EiLj8ELj256EEEvPT_S5_T3_,@function
_Z16operation_kernelIiLj256ELj8EL23memory_operation_method4E9operationIL16kernel_operation3EiLj8ELj256EEEvPT_S5_T3_: ; @_Z16operation_kernelIiLj256ELj8EL23memory_operation_method4E9operationIL16kernel_operation3EiLj8ELj256EEEvPT_S5_T3_
; %bb.0:
	s_load_dwordx4 s[0:3], s[4:5], 0x0
	s_load_dword s7, s[4:5], 0x24
	s_lshl_b32 s4, s6, 11
	s_mov_b32 s5, 0
	s_lshl_b64 s[4:5], s[4:5], 2
	v_mbcnt_lo_u32_b32 v1, -1, 0
	s_waitcnt lgkmcnt(0)
	s_add_u32 s0, s0, s4
	v_mbcnt_hi_u32_b32 v4, -1, v1
	s_addc_u32 s1, s1, s5
	v_lshlrev_b32_e32 v1, 3, v0
	v_lshlrev_b32_e32 v10, 2, v4
	v_and_b32_e32 v5, 0x600, v1
	v_mov_b32_e32 v1, s1
	v_add_co_u32_e32 v2, vcc, s0, v10
	v_addc_co_u32_e32 v1, vcc, 0, v1, vcc
	v_lshlrev_b32_e32 v11, 2, v5
	v_add_co_u32_e32 v2, vcc, v2, v11
	v_addc_co_u32_e32 v3, vcc, 0, v1, vcc
	global_load_dword v6, v[2:3], off
	global_load_dword v7, v[2:3], off offset:256
	global_load_dword v8, v[2:3], off offset:512
	;; [unrolled: 1-line block ×7, first 2 shown]
	v_and_b32_e32 v2, 0xc0, v0
	s_and_b32 s0, s7, 0xffff
	v_add_u32_e32 v2, v4, v2
	v_or_b32_e32 v3, v4, v5
	s_mul_i32 s6, s6, s0
	v_mov_b32_e32 v1, 0
	v_lshlrev_b32_e32 v4, 3, v2
	v_bfe_u32 v2, v2, 2, 27
	v_add_u32_e32 v17, 64, v3
	v_add_lshl_u32 v0, s6, v0, 3
	v_add_lshl_u32 v24, v2, v4, 2
	v_lshrrev_b32_e32 v2, 5, v17
	v_lshlrev_b64 v[0:1], 2, v[0:1]
	v_lshrrev_b32_e32 v5, 5, v3
	v_or_b32_e32 v18, 0x80, v3
	v_add_u32_e32 v19, 0xc0, v3
	v_or_b32_e32 v20, 0x100, v3
	v_add_u32_e32 v21, 0x140, v3
	;; [unrolled: 2-line block ×3, first 2 shown]
	v_add_lshl_u32 v17, v2, v17, 2
	v_mov_b32_e32 v2, s3
	v_add_co_u32_e32 v0, vcc, s2, v0
	v_mov_b32_e32 v16, 0x29a
	v_add_lshl_u32 v25, v5, v3, 2
	v_lshrrev_b32_e32 v3, 5, v18
	v_lshrrev_b32_e32 v4, 5, v19
	;; [unrolled: 1-line block ×6, first 2 shown]
	v_addc_co_u32_e32 v1, vcc, v2, v1, vcc
	v_add_lshl_u32 v18, v3, v18, 2
	v_add_lshl_u32 v19, v4, v19, 2
	;; [unrolled: 1-line block ×6, first 2 shown]
	s_add_u32 s0, s2, s4
	s_addc_u32 s1, s3, s5
	s_waitcnt vmcnt(7)
	ds_write_b32 v25, v6
	s_waitcnt vmcnt(6)
	ds_write_b32 v17, v7
	;; [unrolled: 2-line block ×8, first 2 shown]
	; wave barrier
	ds_read2_b32 v[2:3], v24 offset1:1
	ds_read2_b32 v[4:5], v24 offset0:2 offset1:3
	ds_read2_b32 v[6:7], v24 offset0:4 offset1:5
	;; [unrolled: 1-line block ×3, first 2 shown]
	global_atomic_add v[0:1], v16, off
	global_atomic_add v[0:1], v16, off offset:4
	global_atomic_add v[0:1], v16, off offset:8
	;; [unrolled: 1-line block ×7, first 2 shown]
	s_waitcnt lgkmcnt(0)
	s_barrier
	ds_write2_b32 v24, v2, v3 offset1:1
	ds_write2_b32 v24, v4, v5 offset0:2 offset1:3
	ds_write2_b32 v24, v6, v7 offset0:4 offset1:5
	;; [unrolled: 1-line block ×3, first 2 shown]
	; wave barrier
	ds_read_b32 v2, v25
	ds_read_b32 v3, v17
	;; [unrolled: 1-line block ×8, first 2 shown]
	v_mov_b32_e32 v0, s1
	v_add_co_u32_e32 v1, vcc, s0, v10
	v_addc_co_u32_e32 v10, vcc, 0, v0, vcc
	v_add_co_u32_e32 v0, vcc, v1, v11
	v_addc_co_u32_e32 v1, vcc, 0, v10, vcc
	s_waitcnt lgkmcnt(7)
	global_store_dword v[0:1], v2, off
	s_waitcnt lgkmcnt(6)
	global_store_dword v[0:1], v3, off offset:256
	s_waitcnt lgkmcnt(5)
	global_store_dword v[0:1], v4, off offset:512
	;; [unrolled: 2-line block ×7, first 2 shown]
	s_endpgm
	.section	.rodata,"a",@progbits
	.p2align	6, 0x0
	.amdhsa_kernel _Z16operation_kernelIiLj256ELj8EL23memory_operation_method4E9operationIL16kernel_operation3EiLj8ELj256EEEvPT_S5_T3_
		.amdhsa_group_segment_fixed_size 8448
		.amdhsa_private_segment_fixed_size 0
		.amdhsa_kernarg_size 280
		.amdhsa_user_sgpr_count 6
		.amdhsa_user_sgpr_private_segment_buffer 1
		.amdhsa_user_sgpr_dispatch_ptr 0
		.amdhsa_user_sgpr_queue_ptr 0
		.amdhsa_user_sgpr_kernarg_segment_ptr 1
		.amdhsa_user_sgpr_dispatch_id 0
		.amdhsa_user_sgpr_flat_scratch_init 0
		.amdhsa_user_sgpr_kernarg_preload_length 0
		.amdhsa_user_sgpr_kernarg_preload_offset 0
		.amdhsa_user_sgpr_private_segment_size 0
		.amdhsa_uses_dynamic_stack 0
		.amdhsa_system_sgpr_private_segment_wavefront_offset 0
		.amdhsa_system_sgpr_workgroup_id_x 1
		.amdhsa_system_sgpr_workgroup_id_y 0
		.amdhsa_system_sgpr_workgroup_id_z 0
		.amdhsa_system_sgpr_workgroup_info 0
		.amdhsa_system_vgpr_workitem_id 0
		.amdhsa_next_free_vgpr 29
		.amdhsa_next_free_sgpr 8
		.amdhsa_accum_offset 32
		.amdhsa_reserve_vcc 1
		.amdhsa_reserve_flat_scratch 0
		.amdhsa_float_round_mode_32 0
		.amdhsa_float_round_mode_16_64 0
		.amdhsa_float_denorm_mode_32 3
		.amdhsa_float_denorm_mode_16_64 3
		.amdhsa_dx10_clamp 1
		.amdhsa_ieee_mode 1
		.amdhsa_fp16_overflow 0
		.amdhsa_tg_split 0
		.amdhsa_exception_fp_ieee_invalid_op 0
		.amdhsa_exception_fp_denorm_src 0
		.amdhsa_exception_fp_ieee_div_zero 0
		.amdhsa_exception_fp_ieee_overflow 0
		.amdhsa_exception_fp_ieee_underflow 0
		.amdhsa_exception_fp_ieee_inexact 0
		.amdhsa_exception_int_div_zero 0
	.end_amdhsa_kernel
	.section	.text._Z16operation_kernelIiLj256ELj8EL23memory_operation_method4E9operationIL16kernel_operation3EiLj8ELj256EEEvPT_S5_T3_,"axG",@progbits,_Z16operation_kernelIiLj256ELj8EL23memory_operation_method4E9operationIL16kernel_operation3EiLj8ELj256EEEvPT_S5_T3_,comdat
.Lfunc_end79:
	.size	_Z16operation_kernelIiLj256ELj8EL23memory_operation_method4E9operationIL16kernel_operation3EiLj8ELj256EEEvPT_S5_T3_, .Lfunc_end79-_Z16operation_kernelIiLj256ELj8EL23memory_operation_method4E9operationIL16kernel_operation3EiLj8ELj256EEEvPT_S5_T3_
                                        ; -- End function
	.section	.AMDGPU.csdata,"",@progbits
; Kernel info:
; codeLenInByte = 820
; NumSgprs: 12
; NumVgprs: 29
; NumAgprs: 0
; TotalNumVgprs: 29
; ScratchSize: 0
; MemoryBound: 0
; FloatMode: 240
; IeeeMode: 1
; LDSByteSize: 8448 bytes/workgroup (compile time only)
; SGPRBlocks: 1
; VGPRBlocks: 3
; NumSGPRsForWavesPerEU: 12
; NumVGPRsForWavesPerEU: 29
; AccumOffset: 32
; Occupancy: 7
; WaveLimiterHint : 1
; COMPUTE_PGM_RSRC2:SCRATCH_EN: 0
; COMPUTE_PGM_RSRC2:USER_SGPR: 6
; COMPUTE_PGM_RSRC2:TRAP_HANDLER: 0
; COMPUTE_PGM_RSRC2:TGID_X_EN: 1
; COMPUTE_PGM_RSRC2:TGID_Y_EN: 0
; COMPUTE_PGM_RSRC2:TGID_Z_EN: 0
; COMPUTE_PGM_RSRC2:TIDIG_COMP_CNT: 0
; COMPUTE_PGM_RSRC3_GFX90A:ACCUM_OFFSET: 7
; COMPUTE_PGM_RSRC3_GFX90A:TG_SPLIT: 0
	.section	.text._Z16operation_kernelIiLj256ELj1EL23memory_operation_method0E9operationIL16kernel_operation4EiLj1ELj256EEEvPT_S5_T3_,"axG",@progbits,_Z16operation_kernelIiLj256ELj1EL23memory_operation_method0E9operationIL16kernel_operation4EiLj1ELj256EEEvPT_S5_T3_,comdat
	.protected	_Z16operation_kernelIiLj256ELj1EL23memory_operation_method0E9operationIL16kernel_operation4EiLj1ELj256EEEvPT_S5_T3_ ; -- Begin function _Z16operation_kernelIiLj256ELj1EL23memory_operation_method0E9operationIL16kernel_operation4EiLj1ELj256EEEvPT_S5_T3_
	.globl	_Z16operation_kernelIiLj256ELj1EL23memory_operation_method0E9operationIL16kernel_operation4EiLj1ELj256EEEvPT_S5_T3_
	.p2align	8
	.type	_Z16operation_kernelIiLj256ELj1EL23memory_operation_method0E9operationIL16kernel_operation4EiLj1ELj256EEEvPT_S5_T3_,@function
_Z16operation_kernelIiLj256ELj1EL23memory_operation_method0E9operationIL16kernel_operation4EiLj1ELj256EEEvPT_S5_T3_: ; @_Z16operation_kernelIiLj256ELj1EL23memory_operation_method0E9operationIL16kernel_operation4EiLj1ELj256EEEvPT_S5_T3_
; %bb.0:
	s_load_dwordx4 s[0:3], s[4:5], 0x0
	s_lshl_b32 s4, s6, 8
	s_mov_b32 s5, 0
	s_lshl_b64 s[4:5], s[4:5], 2
	v_lshlrev_b32_e32 v0, 2, v0
	s_waitcnt lgkmcnt(0)
	s_add_u32 s0, s0, s4
	s_addc_u32 s1, s1, s5
	global_load_dword v1, v0, s[0:1]
	v_mov_b32_e32 v2, 0x29a
	global_atomic_add v0, v2, s[2:3]
	s_add_u32 s0, s2, s4
	s_addc_u32 s1, s3, s5
	s_barrier
	s_waitcnt vmcnt(1)
	global_store_dword v0, v1, s[0:1]
	s_endpgm
	.section	.rodata,"a",@progbits
	.p2align	6, 0x0
	.amdhsa_kernel _Z16operation_kernelIiLj256ELj1EL23memory_operation_method0E9operationIL16kernel_operation4EiLj1ELj256EEEvPT_S5_T3_
		.amdhsa_group_segment_fixed_size 0
		.amdhsa_private_segment_fixed_size 0
		.amdhsa_kernarg_size 20
		.amdhsa_user_sgpr_count 6
		.amdhsa_user_sgpr_private_segment_buffer 1
		.amdhsa_user_sgpr_dispatch_ptr 0
		.amdhsa_user_sgpr_queue_ptr 0
		.amdhsa_user_sgpr_kernarg_segment_ptr 1
		.amdhsa_user_sgpr_dispatch_id 0
		.amdhsa_user_sgpr_flat_scratch_init 0
		.amdhsa_user_sgpr_kernarg_preload_length 0
		.amdhsa_user_sgpr_kernarg_preload_offset 0
		.amdhsa_user_sgpr_private_segment_size 0
		.amdhsa_uses_dynamic_stack 0
		.amdhsa_system_sgpr_private_segment_wavefront_offset 0
		.amdhsa_system_sgpr_workgroup_id_x 1
		.amdhsa_system_sgpr_workgroup_id_y 0
		.amdhsa_system_sgpr_workgroup_id_z 0
		.amdhsa_system_sgpr_workgroup_info 0
		.amdhsa_system_vgpr_workitem_id 0
		.amdhsa_next_free_vgpr 3
		.amdhsa_next_free_sgpr 7
		.amdhsa_accum_offset 4
		.amdhsa_reserve_vcc 0
		.amdhsa_reserve_flat_scratch 0
		.amdhsa_float_round_mode_32 0
		.amdhsa_float_round_mode_16_64 0
		.amdhsa_float_denorm_mode_32 3
		.amdhsa_float_denorm_mode_16_64 3
		.amdhsa_dx10_clamp 1
		.amdhsa_ieee_mode 1
		.amdhsa_fp16_overflow 0
		.amdhsa_tg_split 0
		.amdhsa_exception_fp_ieee_invalid_op 0
		.amdhsa_exception_fp_denorm_src 0
		.amdhsa_exception_fp_ieee_div_zero 0
		.amdhsa_exception_fp_ieee_overflow 0
		.amdhsa_exception_fp_ieee_underflow 0
		.amdhsa_exception_fp_ieee_inexact 0
		.amdhsa_exception_int_div_zero 0
	.end_amdhsa_kernel
	.section	.text._Z16operation_kernelIiLj256ELj1EL23memory_operation_method0E9operationIL16kernel_operation4EiLj1ELj256EEEvPT_S5_T3_,"axG",@progbits,_Z16operation_kernelIiLj256ELj1EL23memory_operation_method0E9operationIL16kernel_operation4EiLj1ELj256EEEvPT_S5_T3_,comdat
.Lfunc_end80:
	.size	_Z16operation_kernelIiLj256ELj1EL23memory_operation_method0E9operationIL16kernel_operation4EiLj1ELj256EEEvPT_S5_T3_, .Lfunc_end80-_Z16operation_kernelIiLj256ELj1EL23memory_operation_method0E9operationIL16kernel_operation4EiLj1ELj256EEEvPT_S5_T3_
                                        ; -- End function
	.section	.AMDGPU.csdata,"",@progbits
; Kernel info:
; codeLenInByte = 88
; NumSgprs: 11
; NumVgprs: 3
; NumAgprs: 0
; TotalNumVgprs: 3
; ScratchSize: 0
; MemoryBound: 0
; FloatMode: 240
; IeeeMode: 1
; LDSByteSize: 0 bytes/workgroup (compile time only)
; SGPRBlocks: 1
; VGPRBlocks: 0
; NumSGPRsForWavesPerEU: 11
; NumVGPRsForWavesPerEU: 3
; AccumOffset: 4
; Occupancy: 8
; WaveLimiterHint : 0
; COMPUTE_PGM_RSRC2:SCRATCH_EN: 0
; COMPUTE_PGM_RSRC2:USER_SGPR: 6
; COMPUTE_PGM_RSRC2:TRAP_HANDLER: 0
; COMPUTE_PGM_RSRC2:TGID_X_EN: 1
; COMPUTE_PGM_RSRC2:TGID_Y_EN: 0
; COMPUTE_PGM_RSRC2:TGID_Z_EN: 0
; COMPUTE_PGM_RSRC2:TIDIG_COMP_CNT: 0
; COMPUTE_PGM_RSRC3_GFX90A:ACCUM_OFFSET: 0
; COMPUTE_PGM_RSRC3_GFX90A:TG_SPLIT: 0
	.section	.text._Z16operation_kernelIiLj256ELj2EL23memory_operation_method0E9operationIL16kernel_operation4EiLj2ELj256EEEvPT_S5_T3_,"axG",@progbits,_Z16operation_kernelIiLj256ELj2EL23memory_operation_method0E9operationIL16kernel_operation4EiLj2ELj256EEEvPT_S5_T3_,comdat
	.protected	_Z16operation_kernelIiLj256ELj2EL23memory_operation_method0E9operationIL16kernel_operation4EiLj2ELj256EEEvPT_S5_T3_ ; -- Begin function _Z16operation_kernelIiLj256ELj2EL23memory_operation_method0E9operationIL16kernel_operation4EiLj2ELj256EEEvPT_S5_T3_
	.globl	_Z16operation_kernelIiLj256ELj2EL23memory_operation_method0E9operationIL16kernel_operation4EiLj2ELj256EEEvPT_S5_T3_
	.p2align	8
	.type	_Z16operation_kernelIiLj256ELj2EL23memory_operation_method0E9operationIL16kernel_operation4EiLj2ELj256EEEvPT_S5_T3_,@function
_Z16operation_kernelIiLj256ELj2EL23memory_operation_method0E9operationIL16kernel_operation4EiLj2ELj256EEEvPT_S5_T3_: ; @_Z16operation_kernelIiLj256ELj2EL23memory_operation_method0E9operationIL16kernel_operation4EiLj2ELj256EEEvPT_S5_T3_
; %bb.0:
	s_load_dwordx4 s[0:3], s[4:5], 0x0
	s_lshl_b32 s4, s6, 9
	s_mov_b32 s5, 0
	s_lshl_b64 s[4:5], s[4:5], 2
	v_lshlrev_b32_e32 v2, 3, v0
	s_waitcnt lgkmcnt(0)
	s_add_u32 s0, s0, s4
	s_addc_u32 s1, s1, s5
	v_mov_b32_e32 v3, 0x29a
	global_load_dwordx2 v[0:1], v2, s[0:1]
	s_nop 0
	global_atomic_add v2, v3, s[2:3]
	global_atomic_add v2, v3, s[2:3] offset:4
	s_add_u32 s0, s2, s4
	s_addc_u32 s1, s3, s5
	s_barrier
	s_waitcnt vmcnt(2)
	global_store_dwordx2 v2, v[0:1], s[0:1]
	s_endpgm
	.section	.rodata,"a",@progbits
	.p2align	6, 0x0
	.amdhsa_kernel _Z16operation_kernelIiLj256ELj2EL23memory_operation_method0E9operationIL16kernel_operation4EiLj2ELj256EEEvPT_S5_T3_
		.amdhsa_group_segment_fixed_size 0
		.amdhsa_private_segment_fixed_size 0
		.amdhsa_kernarg_size 20
		.amdhsa_user_sgpr_count 6
		.amdhsa_user_sgpr_private_segment_buffer 1
		.amdhsa_user_sgpr_dispatch_ptr 0
		.amdhsa_user_sgpr_queue_ptr 0
		.amdhsa_user_sgpr_kernarg_segment_ptr 1
		.amdhsa_user_sgpr_dispatch_id 0
		.amdhsa_user_sgpr_flat_scratch_init 0
		.amdhsa_user_sgpr_kernarg_preload_length 0
		.amdhsa_user_sgpr_kernarg_preload_offset 0
		.amdhsa_user_sgpr_private_segment_size 0
		.amdhsa_uses_dynamic_stack 0
		.amdhsa_system_sgpr_private_segment_wavefront_offset 0
		.amdhsa_system_sgpr_workgroup_id_x 1
		.amdhsa_system_sgpr_workgroup_id_y 0
		.amdhsa_system_sgpr_workgroup_id_z 0
		.amdhsa_system_sgpr_workgroup_info 0
		.amdhsa_system_vgpr_workitem_id 0
		.amdhsa_next_free_vgpr 4
		.amdhsa_next_free_sgpr 7
		.amdhsa_accum_offset 4
		.amdhsa_reserve_vcc 0
		.amdhsa_reserve_flat_scratch 0
		.amdhsa_float_round_mode_32 0
		.amdhsa_float_round_mode_16_64 0
		.amdhsa_float_denorm_mode_32 3
		.amdhsa_float_denorm_mode_16_64 3
		.amdhsa_dx10_clamp 1
		.amdhsa_ieee_mode 1
		.amdhsa_fp16_overflow 0
		.amdhsa_tg_split 0
		.amdhsa_exception_fp_ieee_invalid_op 0
		.amdhsa_exception_fp_denorm_src 0
		.amdhsa_exception_fp_ieee_div_zero 0
		.amdhsa_exception_fp_ieee_overflow 0
		.amdhsa_exception_fp_ieee_underflow 0
		.amdhsa_exception_fp_ieee_inexact 0
		.amdhsa_exception_int_div_zero 0
	.end_amdhsa_kernel
	.section	.text._Z16operation_kernelIiLj256ELj2EL23memory_operation_method0E9operationIL16kernel_operation4EiLj2ELj256EEEvPT_S5_T3_,"axG",@progbits,_Z16operation_kernelIiLj256ELj2EL23memory_operation_method0E9operationIL16kernel_operation4EiLj2ELj256EEEvPT_S5_T3_,comdat
.Lfunc_end81:
	.size	_Z16operation_kernelIiLj256ELj2EL23memory_operation_method0E9operationIL16kernel_operation4EiLj2ELj256EEEvPT_S5_T3_, .Lfunc_end81-_Z16operation_kernelIiLj256ELj2EL23memory_operation_method0E9operationIL16kernel_operation4EiLj2ELj256EEEvPT_S5_T3_
                                        ; -- End function
	.section	.AMDGPU.csdata,"",@progbits
; Kernel info:
; codeLenInByte = 100
; NumSgprs: 11
; NumVgprs: 4
; NumAgprs: 0
; TotalNumVgprs: 4
; ScratchSize: 0
; MemoryBound: 0
; FloatMode: 240
; IeeeMode: 1
; LDSByteSize: 0 bytes/workgroup (compile time only)
; SGPRBlocks: 1
; VGPRBlocks: 0
; NumSGPRsForWavesPerEU: 11
; NumVGPRsForWavesPerEU: 4
; AccumOffset: 4
; Occupancy: 8
; WaveLimiterHint : 0
; COMPUTE_PGM_RSRC2:SCRATCH_EN: 0
; COMPUTE_PGM_RSRC2:USER_SGPR: 6
; COMPUTE_PGM_RSRC2:TRAP_HANDLER: 0
; COMPUTE_PGM_RSRC2:TGID_X_EN: 1
; COMPUTE_PGM_RSRC2:TGID_Y_EN: 0
; COMPUTE_PGM_RSRC2:TGID_Z_EN: 0
; COMPUTE_PGM_RSRC2:TIDIG_COMP_CNT: 0
; COMPUTE_PGM_RSRC3_GFX90A:ACCUM_OFFSET: 0
; COMPUTE_PGM_RSRC3_GFX90A:TG_SPLIT: 0
	.section	.text._Z16operation_kernelIiLj256ELj4EL23memory_operation_method0E9operationIL16kernel_operation4EiLj4ELj256EEEvPT_S5_T3_,"axG",@progbits,_Z16operation_kernelIiLj256ELj4EL23memory_operation_method0E9operationIL16kernel_operation4EiLj4ELj256EEEvPT_S5_T3_,comdat
	.protected	_Z16operation_kernelIiLj256ELj4EL23memory_operation_method0E9operationIL16kernel_operation4EiLj4ELj256EEEvPT_S5_T3_ ; -- Begin function _Z16operation_kernelIiLj256ELj4EL23memory_operation_method0E9operationIL16kernel_operation4EiLj4ELj256EEEvPT_S5_T3_
	.globl	_Z16operation_kernelIiLj256ELj4EL23memory_operation_method0E9operationIL16kernel_operation4EiLj4ELj256EEEvPT_S5_T3_
	.p2align	8
	.type	_Z16operation_kernelIiLj256ELj4EL23memory_operation_method0E9operationIL16kernel_operation4EiLj4ELj256EEEvPT_S5_T3_,@function
_Z16operation_kernelIiLj256ELj4EL23memory_operation_method0E9operationIL16kernel_operation4EiLj4ELj256EEEvPT_S5_T3_: ; @_Z16operation_kernelIiLj256ELj4EL23memory_operation_method0E9operationIL16kernel_operation4EiLj4ELj256EEEvPT_S5_T3_
; %bb.0:
	s_load_dwordx4 s[0:3], s[4:5], 0x0
	s_lshl_b32 s4, s6, 10
	s_mov_b32 s5, 0
	s_lshl_b64 s[4:5], s[4:5], 2
	v_lshlrev_b32_e32 v4, 4, v0
	s_waitcnt lgkmcnt(0)
	s_add_u32 s0, s0, s4
	s_addc_u32 s1, s1, s5
	v_mov_b32_e32 v5, 0x29a
	global_load_dwordx4 v[0:3], v4, s[0:1]
	s_nop 0
	global_atomic_add v4, v5, s[2:3]
	global_atomic_add v4, v5, s[2:3] offset:4
	global_atomic_add v4, v5, s[2:3] offset:8
	;; [unrolled: 1-line block ×3, first 2 shown]
	s_add_u32 s0, s2, s4
	s_addc_u32 s1, s3, s5
	s_barrier
	s_waitcnt vmcnt(4)
	global_store_dwordx4 v4, v[0:3], s[0:1]
	s_endpgm
	.section	.rodata,"a",@progbits
	.p2align	6, 0x0
	.amdhsa_kernel _Z16operation_kernelIiLj256ELj4EL23memory_operation_method0E9operationIL16kernel_operation4EiLj4ELj256EEEvPT_S5_T3_
		.amdhsa_group_segment_fixed_size 0
		.amdhsa_private_segment_fixed_size 0
		.amdhsa_kernarg_size 20
		.amdhsa_user_sgpr_count 6
		.amdhsa_user_sgpr_private_segment_buffer 1
		.amdhsa_user_sgpr_dispatch_ptr 0
		.amdhsa_user_sgpr_queue_ptr 0
		.amdhsa_user_sgpr_kernarg_segment_ptr 1
		.amdhsa_user_sgpr_dispatch_id 0
		.amdhsa_user_sgpr_flat_scratch_init 0
		.amdhsa_user_sgpr_kernarg_preload_length 0
		.amdhsa_user_sgpr_kernarg_preload_offset 0
		.amdhsa_user_sgpr_private_segment_size 0
		.amdhsa_uses_dynamic_stack 0
		.amdhsa_system_sgpr_private_segment_wavefront_offset 0
		.amdhsa_system_sgpr_workgroup_id_x 1
		.amdhsa_system_sgpr_workgroup_id_y 0
		.amdhsa_system_sgpr_workgroup_id_z 0
		.amdhsa_system_sgpr_workgroup_info 0
		.amdhsa_system_vgpr_workitem_id 0
		.amdhsa_next_free_vgpr 6
		.amdhsa_next_free_sgpr 7
		.amdhsa_accum_offset 8
		.amdhsa_reserve_vcc 0
		.amdhsa_reserve_flat_scratch 0
		.amdhsa_float_round_mode_32 0
		.amdhsa_float_round_mode_16_64 0
		.amdhsa_float_denorm_mode_32 3
		.amdhsa_float_denorm_mode_16_64 3
		.amdhsa_dx10_clamp 1
		.amdhsa_ieee_mode 1
		.amdhsa_fp16_overflow 0
		.amdhsa_tg_split 0
		.amdhsa_exception_fp_ieee_invalid_op 0
		.amdhsa_exception_fp_denorm_src 0
		.amdhsa_exception_fp_ieee_div_zero 0
		.amdhsa_exception_fp_ieee_overflow 0
		.amdhsa_exception_fp_ieee_underflow 0
		.amdhsa_exception_fp_ieee_inexact 0
		.amdhsa_exception_int_div_zero 0
	.end_amdhsa_kernel
	.section	.text._Z16operation_kernelIiLj256ELj4EL23memory_operation_method0E9operationIL16kernel_operation4EiLj4ELj256EEEvPT_S5_T3_,"axG",@progbits,_Z16operation_kernelIiLj256ELj4EL23memory_operation_method0E9operationIL16kernel_operation4EiLj4ELj256EEEvPT_S5_T3_,comdat
.Lfunc_end82:
	.size	_Z16operation_kernelIiLj256ELj4EL23memory_operation_method0E9operationIL16kernel_operation4EiLj4ELj256EEEvPT_S5_T3_, .Lfunc_end82-_Z16operation_kernelIiLj256ELj4EL23memory_operation_method0E9operationIL16kernel_operation4EiLj4ELj256EEEvPT_S5_T3_
                                        ; -- End function
	.section	.AMDGPU.csdata,"",@progbits
; Kernel info:
; codeLenInByte = 116
; NumSgprs: 11
; NumVgprs: 6
; NumAgprs: 0
; TotalNumVgprs: 6
; ScratchSize: 0
; MemoryBound: 0
; FloatMode: 240
; IeeeMode: 1
; LDSByteSize: 0 bytes/workgroup (compile time only)
; SGPRBlocks: 1
; VGPRBlocks: 0
; NumSGPRsForWavesPerEU: 11
; NumVGPRsForWavesPerEU: 6
; AccumOffset: 8
; Occupancy: 8
; WaveLimiterHint : 0
; COMPUTE_PGM_RSRC2:SCRATCH_EN: 0
; COMPUTE_PGM_RSRC2:USER_SGPR: 6
; COMPUTE_PGM_RSRC2:TRAP_HANDLER: 0
; COMPUTE_PGM_RSRC2:TGID_X_EN: 1
; COMPUTE_PGM_RSRC2:TGID_Y_EN: 0
; COMPUTE_PGM_RSRC2:TGID_Z_EN: 0
; COMPUTE_PGM_RSRC2:TIDIG_COMP_CNT: 0
; COMPUTE_PGM_RSRC3_GFX90A:ACCUM_OFFSET: 1
; COMPUTE_PGM_RSRC3_GFX90A:TG_SPLIT: 0
	.section	.text._Z16operation_kernelIiLj256ELj8EL23memory_operation_method0E9operationIL16kernel_operation4EiLj8ELj256EEEvPT_S5_T3_,"axG",@progbits,_Z16operation_kernelIiLj256ELj8EL23memory_operation_method0E9operationIL16kernel_operation4EiLj8ELj256EEEvPT_S5_T3_,comdat
	.protected	_Z16operation_kernelIiLj256ELj8EL23memory_operation_method0E9operationIL16kernel_operation4EiLj8ELj256EEEvPT_S5_T3_ ; -- Begin function _Z16operation_kernelIiLj256ELj8EL23memory_operation_method0E9operationIL16kernel_operation4EiLj8ELj256EEEvPT_S5_T3_
	.globl	_Z16operation_kernelIiLj256ELj8EL23memory_operation_method0E9operationIL16kernel_operation4EiLj8ELj256EEEvPT_S5_T3_
	.p2align	8
	.type	_Z16operation_kernelIiLj256ELj8EL23memory_operation_method0E9operationIL16kernel_operation4EiLj8ELj256EEEvPT_S5_T3_,@function
_Z16operation_kernelIiLj256ELj8EL23memory_operation_method0E9operationIL16kernel_operation4EiLj8ELj256EEEvPT_S5_T3_: ; @_Z16operation_kernelIiLj256ELj8EL23memory_operation_method0E9operationIL16kernel_operation4EiLj8ELj256EEEvPT_S5_T3_
; %bb.0:
	s_load_dwordx4 s[0:3], s[4:5], 0x0
	s_lshl_b32 s4, s6, 11
	s_mov_b32 s5, 0
	s_lshl_b64 s[4:5], s[4:5], 2
	v_lshlrev_b32_e32 v8, 5, v0
	s_waitcnt lgkmcnt(0)
	s_add_u32 s0, s0, s4
	s_addc_u32 s1, s1, s5
	v_mov_b32_e32 v9, 0x29a
	global_load_dwordx4 v[0:3], v8, s[0:1] offset:16
	global_load_dwordx4 v[4:7], v8, s[0:1]
	s_nop 0
	global_atomic_add v8, v9, s[2:3]
	global_atomic_add v8, v9, s[2:3] offset:4
	global_atomic_add v8, v9, s[2:3] offset:8
	;; [unrolled: 1-line block ×7, first 2 shown]
	s_add_u32 s0, s2, s4
	s_addc_u32 s1, s3, s5
	s_barrier
	s_waitcnt vmcnt(8)
	global_store_dwordx4 v8, v[4:7], s[0:1]
	global_store_dwordx4 v8, v[0:3], s[0:1] offset:16
	s_endpgm
	.section	.rodata,"a",@progbits
	.p2align	6, 0x0
	.amdhsa_kernel _Z16operation_kernelIiLj256ELj8EL23memory_operation_method0E9operationIL16kernel_operation4EiLj8ELj256EEEvPT_S5_T3_
		.amdhsa_group_segment_fixed_size 0
		.amdhsa_private_segment_fixed_size 0
		.amdhsa_kernarg_size 20
		.amdhsa_user_sgpr_count 6
		.amdhsa_user_sgpr_private_segment_buffer 1
		.amdhsa_user_sgpr_dispatch_ptr 0
		.amdhsa_user_sgpr_queue_ptr 0
		.amdhsa_user_sgpr_kernarg_segment_ptr 1
		.amdhsa_user_sgpr_dispatch_id 0
		.amdhsa_user_sgpr_flat_scratch_init 0
		.amdhsa_user_sgpr_kernarg_preload_length 0
		.amdhsa_user_sgpr_kernarg_preload_offset 0
		.amdhsa_user_sgpr_private_segment_size 0
		.amdhsa_uses_dynamic_stack 0
		.amdhsa_system_sgpr_private_segment_wavefront_offset 0
		.amdhsa_system_sgpr_workgroup_id_x 1
		.amdhsa_system_sgpr_workgroup_id_y 0
		.amdhsa_system_sgpr_workgroup_id_z 0
		.amdhsa_system_sgpr_workgroup_info 0
		.amdhsa_system_vgpr_workitem_id 0
		.amdhsa_next_free_vgpr 10
		.amdhsa_next_free_sgpr 7
		.amdhsa_accum_offset 12
		.amdhsa_reserve_vcc 0
		.amdhsa_reserve_flat_scratch 0
		.amdhsa_float_round_mode_32 0
		.amdhsa_float_round_mode_16_64 0
		.amdhsa_float_denorm_mode_32 3
		.amdhsa_float_denorm_mode_16_64 3
		.amdhsa_dx10_clamp 1
		.amdhsa_ieee_mode 1
		.amdhsa_fp16_overflow 0
		.amdhsa_tg_split 0
		.amdhsa_exception_fp_ieee_invalid_op 0
		.amdhsa_exception_fp_denorm_src 0
		.amdhsa_exception_fp_ieee_div_zero 0
		.amdhsa_exception_fp_ieee_overflow 0
		.amdhsa_exception_fp_ieee_underflow 0
		.amdhsa_exception_fp_ieee_inexact 0
		.amdhsa_exception_int_div_zero 0
	.end_amdhsa_kernel
	.section	.text._Z16operation_kernelIiLj256ELj8EL23memory_operation_method0E9operationIL16kernel_operation4EiLj8ELj256EEEvPT_S5_T3_,"axG",@progbits,_Z16operation_kernelIiLj256ELj8EL23memory_operation_method0E9operationIL16kernel_operation4EiLj8ELj256EEEvPT_S5_T3_,comdat
.Lfunc_end83:
	.size	_Z16operation_kernelIiLj256ELj8EL23memory_operation_method0E9operationIL16kernel_operation4EiLj8ELj256EEEvPT_S5_T3_, .Lfunc_end83-_Z16operation_kernelIiLj256ELj8EL23memory_operation_method0E9operationIL16kernel_operation4EiLj8ELj256EEEvPT_S5_T3_
                                        ; -- End function
	.section	.AMDGPU.csdata,"",@progbits
; Kernel info:
; codeLenInByte = 164
; NumSgprs: 11
; NumVgprs: 10
; NumAgprs: 0
; TotalNumVgprs: 10
; ScratchSize: 0
; MemoryBound: 0
; FloatMode: 240
; IeeeMode: 1
; LDSByteSize: 0 bytes/workgroup (compile time only)
; SGPRBlocks: 1
; VGPRBlocks: 1
; NumSGPRsForWavesPerEU: 11
; NumVGPRsForWavesPerEU: 10
; AccumOffset: 12
; Occupancy: 8
; WaveLimiterHint : 0
; COMPUTE_PGM_RSRC2:SCRATCH_EN: 0
; COMPUTE_PGM_RSRC2:USER_SGPR: 6
; COMPUTE_PGM_RSRC2:TRAP_HANDLER: 0
; COMPUTE_PGM_RSRC2:TGID_X_EN: 1
; COMPUTE_PGM_RSRC2:TGID_Y_EN: 0
; COMPUTE_PGM_RSRC2:TGID_Z_EN: 0
; COMPUTE_PGM_RSRC2:TIDIG_COMP_CNT: 0
; COMPUTE_PGM_RSRC3_GFX90A:ACCUM_OFFSET: 2
; COMPUTE_PGM_RSRC3_GFX90A:TG_SPLIT: 0
	.section	.text._Z16operation_kernelIiLj256ELj1EL23memory_operation_method1E9operationIL16kernel_operation4EiLj1ELj256EEEvPT_S5_T3_,"axG",@progbits,_Z16operation_kernelIiLj256ELj1EL23memory_operation_method1E9operationIL16kernel_operation4EiLj1ELj256EEEvPT_S5_T3_,comdat
	.protected	_Z16operation_kernelIiLj256ELj1EL23memory_operation_method1E9operationIL16kernel_operation4EiLj1ELj256EEEvPT_S5_T3_ ; -- Begin function _Z16operation_kernelIiLj256ELj1EL23memory_operation_method1E9operationIL16kernel_operation4EiLj1ELj256EEEvPT_S5_T3_
	.globl	_Z16operation_kernelIiLj256ELj1EL23memory_operation_method1E9operationIL16kernel_operation4EiLj1ELj256EEEvPT_S5_T3_
	.p2align	8
	.type	_Z16operation_kernelIiLj256ELj1EL23memory_operation_method1E9operationIL16kernel_operation4EiLj1ELj256EEEvPT_S5_T3_,@function
_Z16operation_kernelIiLj256ELj1EL23memory_operation_method1E9operationIL16kernel_operation4EiLj1ELj256EEEvPT_S5_T3_: ; @_Z16operation_kernelIiLj256ELj1EL23memory_operation_method1E9operationIL16kernel_operation4EiLj1ELj256EEEvPT_S5_T3_
; %bb.0:
	s_load_dwordx4 s[0:3], s[4:5], 0x0
	s_lshl_b32 s4, s6, 8
	s_mov_b32 s5, 0
	s_lshl_b64 s[4:5], s[4:5], 2
	v_lshlrev_b32_e32 v0, 2, v0
	s_waitcnt lgkmcnt(0)
	s_add_u32 s0, s0, s4
	s_addc_u32 s1, s1, s5
	global_load_dword v1, v0, s[0:1]
	v_mov_b32_e32 v2, 0x29a
	global_atomic_add v0, v2, s[2:3]
	s_add_u32 s0, s2, s4
	s_addc_u32 s1, s3, s5
	s_barrier
	s_waitcnt vmcnt(1)
	global_store_dword v0, v1, s[0:1]
	s_endpgm
	.section	.rodata,"a",@progbits
	.p2align	6, 0x0
	.amdhsa_kernel _Z16operation_kernelIiLj256ELj1EL23memory_operation_method1E9operationIL16kernel_operation4EiLj1ELj256EEEvPT_S5_T3_
		.amdhsa_group_segment_fixed_size 0
		.amdhsa_private_segment_fixed_size 0
		.amdhsa_kernarg_size 20
		.amdhsa_user_sgpr_count 6
		.amdhsa_user_sgpr_private_segment_buffer 1
		.amdhsa_user_sgpr_dispatch_ptr 0
		.amdhsa_user_sgpr_queue_ptr 0
		.amdhsa_user_sgpr_kernarg_segment_ptr 1
		.amdhsa_user_sgpr_dispatch_id 0
		.amdhsa_user_sgpr_flat_scratch_init 0
		.amdhsa_user_sgpr_kernarg_preload_length 0
		.amdhsa_user_sgpr_kernarg_preload_offset 0
		.amdhsa_user_sgpr_private_segment_size 0
		.amdhsa_uses_dynamic_stack 0
		.amdhsa_system_sgpr_private_segment_wavefront_offset 0
		.amdhsa_system_sgpr_workgroup_id_x 1
		.amdhsa_system_sgpr_workgroup_id_y 0
		.amdhsa_system_sgpr_workgroup_id_z 0
		.amdhsa_system_sgpr_workgroup_info 0
		.amdhsa_system_vgpr_workitem_id 0
		.amdhsa_next_free_vgpr 3
		.amdhsa_next_free_sgpr 7
		.amdhsa_accum_offset 4
		.amdhsa_reserve_vcc 0
		.amdhsa_reserve_flat_scratch 0
		.amdhsa_float_round_mode_32 0
		.amdhsa_float_round_mode_16_64 0
		.amdhsa_float_denorm_mode_32 3
		.amdhsa_float_denorm_mode_16_64 3
		.amdhsa_dx10_clamp 1
		.amdhsa_ieee_mode 1
		.amdhsa_fp16_overflow 0
		.amdhsa_tg_split 0
		.amdhsa_exception_fp_ieee_invalid_op 0
		.amdhsa_exception_fp_denorm_src 0
		.amdhsa_exception_fp_ieee_div_zero 0
		.amdhsa_exception_fp_ieee_overflow 0
		.amdhsa_exception_fp_ieee_underflow 0
		.amdhsa_exception_fp_ieee_inexact 0
		.amdhsa_exception_int_div_zero 0
	.end_amdhsa_kernel
	.section	.text._Z16operation_kernelIiLj256ELj1EL23memory_operation_method1E9operationIL16kernel_operation4EiLj1ELj256EEEvPT_S5_T3_,"axG",@progbits,_Z16operation_kernelIiLj256ELj1EL23memory_operation_method1E9operationIL16kernel_operation4EiLj1ELj256EEEvPT_S5_T3_,comdat
.Lfunc_end84:
	.size	_Z16operation_kernelIiLj256ELj1EL23memory_operation_method1E9operationIL16kernel_operation4EiLj1ELj256EEEvPT_S5_T3_, .Lfunc_end84-_Z16operation_kernelIiLj256ELj1EL23memory_operation_method1E9operationIL16kernel_operation4EiLj1ELj256EEEvPT_S5_T3_
                                        ; -- End function
	.section	.AMDGPU.csdata,"",@progbits
; Kernel info:
; codeLenInByte = 88
; NumSgprs: 11
; NumVgprs: 3
; NumAgprs: 0
; TotalNumVgprs: 3
; ScratchSize: 0
; MemoryBound: 0
; FloatMode: 240
; IeeeMode: 1
; LDSByteSize: 0 bytes/workgroup (compile time only)
; SGPRBlocks: 1
; VGPRBlocks: 0
; NumSGPRsForWavesPerEU: 11
; NumVGPRsForWavesPerEU: 3
; AccumOffset: 4
; Occupancy: 8
; WaveLimiterHint : 0
; COMPUTE_PGM_RSRC2:SCRATCH_EN: 0
; COMPUTE_PGM_RSRC2:USER_SGPR: 6
; COMPUTE_PGM_RSRC2:TRAP_HANDLER: 0
; COMPUTE_PGM_RSRC2:TGID_X_EN: 1
; COMPUTE_PGM_RSRC2:TGID_Y_EN: 0
; COMPUTE_PGM_RSRC2:TGID_Z_EN: 0
; COMPUTE_PGM_RSRC2:TIDIG_COMP_CNT: 0
; COMPUTE_PGM_RSRC3_GFX90A:ACCUM_OFFSET: 0
; COMPUTE_PGM_RSRC3_GFX90A:TG_SPLIT: 0
	.section	.text._Z16operation_kernelIiLj256ELj2EL23memory_operation_method1E9operationIL16kernel_operation4EiLj2ELj256EEEvPT_S5_T3_,"axG",@progbits,_Z16operation_kernelIiLj256ELj2EL23memory_operation_method1E9operationIL16kernel_operation4EiLj2ELj256EEEvPT_S5_T3_,comdat
	.protected	_Z16operation_kernelIiLj256ELj2EL23memory_operation_method1E9operationIL16kernel_operation4EiLj2ELj256EEEvPT_S5_T3_ ; -- Begin function _Z16operation_kernelIiLj256ELj2EL23memory_operation_method1E9operationIL16kernel_operation4EiLj2ELj256EEEvPT_S5_T3_
	.globl	_Z16operation_kernelIiLj256ELj2EL23memory_operation_method1E9operationIL16kernel_operation4EiLj2ELj256EEEvPT_S5_T3_
	.p2align	8
	.type	_Z16operation_kernelIiLj256ELj2EL23memory_operation_method1E9operationIL16kernel_operation4EiLj2ELj256EEEvPT_S5_T3_,@function
_Z16operation_kernelIiLj256ELj2EL23memory_operation_method1E9operationIL16kernel_operation4EiLj2ELj256EEEvPT_S5_T3_: ; @_Z16operation_kernelIiLj256ELj2EL23memory_operation_method1E9operationIL16kernel_operation4EiLj2ELj256EEEvPT_S5_T3_
; %bb.0:
	s_load_dwordx4 s[0:3], s[4:5], 0x0
	s_lshl_b32 s4, s6, 9
	s_mov_b32 s5, 0
	s_lshl_b64 s[4:5], s[4:5], 2
	v_lshlrev_b32_e32 v1, 2, v0
	s_waitcnt lgkmcnt(0)
	s_add_u32 s0, s0, s4
	s_addc_u32 s1, s1, s5
	v_lshlrev_b32_e32 v0, 3, v0
	v_mov_b32_e32 v4, 0x29a
	global_load_dword v2, v1, s[0:1]
	global_load_dword v3, v1, s[0:1] offset:1024
	s_nop 0
	global_atomic_add v0, v4, s[2:3]
	global_atomic_add v0, v4, s[2:3] offset:4
	s_add_u32 s0, s2, s4
	s_addc_u32 s1, s3, s5
	s_barrier
	s_waitcnt vmcnt(3)
	global_store_dword v1, v2, s[0:1]
	s_waitcnt vmcnt(3)
	global_store_dword v1, v3, s[0:1] offset:1024
	s_endpgm
	.section	.rodata,"a",@progbits
	.p2align	6, 0x0
	.amdhsa_kernel _Z16operation_kernelIiLj256ELj2EL23memory_operation_method1E9operationIL16kernel_operation4EiLj2ELj256EEEvPT_S5_T3_
		.amdhsa_group_segment_fixed_size 0
		.amdhsa_private_segment_fixed_size 0
		.amdhsa_kernarg_size 20
		.amdhsa_user_sgpr_count 6
		.amdhsa_user_sgpr_private_segment_buffer 1
		.amdhsa_user_sgpr_dispatch_ptr 0
		.amdhsa_user_sgpr_queue_ptr 0
		.amdhsa_user_sgpr_kernarg_segment_ptr 1
		.amdhsa_user_sgpr_dispatch_id 0
		.amdhsa_user_sgpr_flat_scratch_init 0
		.amdhsa_user_sgpr_kernarg_preload_length 0
		.amdhsa_user_sgpr_kernarg_preload_offset 0
		.amdhsa_user_sgpr_private_segment_size 0
		.amdhsa_uses_dynamic_stack 0
		.amdhsa_system_sgpr_private_segment_wavefront_offset 0
		.amdhsa_system_sgpr_workgroup_id_x 1
		.amdhsa_system_sgpr_workgroup_id_y 0
		.amdhsa_system_sgpr_workgroup_id_z 0
		.amdhsa_system_sgpr_workgroup_info 0
		.amdhsa_system_vgpr_workitem_id 0
		.amdhsa_next_free_vgpr 5
		.amdhsa_next_free_sgpr 7
		.amdhsa_accum_offset 8
		.amdhsa_reserve_vcc 0
		.amdhsa_reserve_flat_scratch 0
		.amdhsa_float_round_mode_32 0
		.amdhsa_float_round_mode_16_64 0
		.amdhsa_float_denorm_mode_32 3
		.amdhsa_float_denorm_mode_16_64 3
		.amdhsa_dx10_clamp 1
		.amdhsa_ieee_mode 1
		.amdhsa_fp16_overflow 0
		.amdhsa_tg_split 0
		.amdhsa_exception_fp_ieee_invalid_op 0
		.amdhsa_exception_fp_denorm_src 0
		.amdhsa_exception_fp_ieee_div_zero 0
		.amdhsa_exception_fp_ieee_overflow 0
		.amdhsa_exception_fp_ieee_underflow 0
		.amdhsa_exception_fp_ieee_inexact 0
		.amdhsa_exception_int_div_zero 0
	.end_amdhsa_kernel
	.section	.text._Z16operation_kernelIiLj256ELj2EL23memory_operation_method1E9operationIL16kernel_operation4EiLj2ELj256EEEvPT_S5_T3_,"axG",@progbits,_Z16operation_kernelIiLj256ELj2EL23memory_operation_method1E9operationIL16kernel_operation4EiLj2ELj256EEEvPT_S5_T3_,comdat
.Lfunc_end85:
	.size	_Z16operation_kernelIiLj256ELj2EL23memory_operation_method1E9operationIL16kernel_operation4EiLj2ELj256EEEvPT_S5_T3_, .Lfunc_end85-_Z16operation_kernelIiLj256ELj2EL23memory_operation_method1E9operationIL16kernel_operation4EiLj2ELj256EEEvPT_S5_T3_
                                        ; -- End function
	.section	.AMDGPU.csdata,"",@progbits
; Kernel info:
; codeLenInByte = 124
; NumSgprs: 11
; NumVgprs: 5
; NumAgprs: 0
; TotalNumVgprs: 5
; ScratchSize: 0
; MemoryBound: 0
; FloatMode: 240
; IeeeMode: 1
; LDSByteSize: 0 bytes/workgroup (compile time only)
; SGPRBlocks: 1
; VGPRBlocks: 0
; NumSGPRsForWavesPerEU: 11
; NumVGPRsForWavesPerEU: 5
; AccumOffset: 8
; Occupancy: 8
; WaveLimiterHint : 1
; COMPUTE_PGM_RSRC2:SCRATCH_EN: 0
; COMPUTE_PGM_RSRC2:USER_SGPR: 6
; COMPUTE_PGM_RSRC2:TRAP_HANDLER: 0
; COMPUTE_PGM_RSRC2:TGID_X_EN: 1
; COMPUTE_PGM_RSRC2:TGID_Y_EN: 0
; COMPUTE_PGM_RSRC2:TGID_Z_EN: 0
; COMPUTE_PGM_RSRC2:TIDIG_COMP_CNT: 0
; COMPUTE_PGM_RSRC3_GFX90A:ACCUM_OFFSET: 1
; COMPUTE_PGM_RSRC3_GFX90A:TG_SPLIT: 0
	.section	.text._Z16operation_kernelIiLj256ELj4EL23memory_operation_method1E9operationIL16kernel_operation4EiLj4ELj256EEEvPT_S5_T3_,"axG",@progbits,_Z16operation_kernelIiLj256ELj4EL23memory_operation_method1E9operationIL16kernel_operation4EiLj4ELj256EEEvPT_S5_T3_,comdat
	.protected	_Z16operation_kernelIiLj256ELj4EL23memory_operation_method1E9operationIL16kernel_operation4EiLj4ELj256EEEvPT_S5_T3_ ; -- Begin function _Z16operation_kernelIiLj256ELj4EL23memory_operation_method1E9operationIL16kernel_operation4EiLj4ELj256EEEvPT_S5_T3_
	.globl	_Z16operation_kernelIiLj256ELj4EL23memory_operation_method1E9operationIL16kernel_operation4EiLj4ELj256EEEvPT_S5_T3_
	.p2align	8
	.type	_Z16operation_kernelIiLj256ELj4EL23memory_operation_method1E9operationIL16kernel_operation4EiLj4ELj256EEEvPT_S5_T3_,@function
_Z16operation_kernelIiLj256ELj4EL23memory_operation_method1E9operationIL16kernel_operation4EiLj4ELj256EEEvPT_S5_T3_: ; @_Z16operation_kernelIiLj256ELj4EL23memory_operation_method1E9operationIL16kernel_operation4EiLj4ELj256EEEvPT_S5_T3_
; %bb.0:
	s_load_dwordx4 s[0:3], s[4:5], 0x0
	s_lshl_b32 s4, s6, 10
	s_mov_b32 s5, 0
	s_lshl_b64 s[4:5], s[4:5], 2
	v_lshlrev_b32_e32 v1, 2, v0
	s_waitcnt lgkmcnt(0)
	s_add_u32 s0, s0, s4
	s_addc_u32 s1, s1, s5
	v_lshlrev_b32_e32 v0, 4, v0
	v_mov_b32_e32 v6, 0x29a
	global_load_dword v2, v1, s[0:1]
	global_load_dword v3, v1, s[0:1] offset:1024
	global_load_dword v4, v1, s[0:1] offset:2048
	;; [unrolled: 1-line block ×3, first 2 shown]
	s_nop 0
	global_atomic_add v0, v6, s[2:3]
	global_atomic_add v0, v6, s[2:3] offset:4
	global_atomic_add v0, v6, s[2:3] offset:8
	global_atomic_add v0, v6, s[2:3] offset:12
	s_add_u32 s0, s2, s4
	s_addc_u32 s1, s3, s5
	s_barrier
	s_waitcnt vmcnt(7)
	global_store_dword v1, v2, s[0:1]
	s_waitcnt vmcnt(7)
	global_store_dword v1, v3, s[0:1] offset:1024
	s_waitcnt vmcnt(7)
	global_store_dword v1, v4, s[0:1] offset:2048
	;; [unrolled: 2-line block ×3, first 2 shown]
	s_endpgm
	.section	.rodata,"a",@progbits
	.p2align	6, 0x0
	.amdhsa_kernel _Z16operation_kernelIiLj256ELj4EL23memory_operation_method1E9operationIL16kernel_operation4EiLj4ELj256EEEvPT_S5_T3_
		.amdhsa_group_segment_fixed_size 0
		.amdhsa_private_segment_fixed_size 0
		.amdhsa_kernarg_size 20
		.amdhsa_user_sgpr_count 6
		.amdhsa_user_sgpr_private_segment_buffer 1
		.amdhsa_user_sgpr_dispatch_ptr 0
		.amdhsa_user_sgpr_queue_ptr 0
		.amdhsa_user_sgpr_kernarg_segment_ptr 1
		.amdhsa_user_sgpr_dispatch_id 0
		.amdhsa_user_sgpr_flat_scratch_init 0
		.amdhsa_user_sgpr_kernarg_preload_length 0
		.amdhsa_user_sgpr_kernarg_preload_offset 0
		.amdhsa_user_sgpr_private_segment_size 0
		.amdhsa_uses_dynamic_stack 0
		.amdhsa_system_sgpr_private_segment_wavefront_offset 0
		.amdhsa_system_sgpr_workgroup_id_x 1
		.amdhsa_system_sgpr_workgroup_id_y 0
		.amdhsa_system_sgpr_workgroup_id_z 0
		.amdhsa_system_sgpr_workgroup_info 0
		.amdhsa_system_vgpr_workitem_id 0
		.amdhsa_next_free_vgpr 7
		.amdhsa_next_free_sgpr 7
		.amdhsa_accum_offset 8
		.amdhsa_reserve_vcc 0
		.amdhsa_reserve_flat_scratch 0
		.amdhsa_float_round_mode_32 0
		.amdhsa_float_round_mode_16_64 0
		.amdhsa_float_denorm_mode_32 3
		.amdhsa_float_denorm_mode_16_64 3
		.amdhsa_dx10_clamp 1
		.amdhsa_ieee_mode 1
		.amdhsa_fp16_overflow 0
		.amdhsa_tg_split 0
		.amdhsa_exception_fp_ieee_invalid_op 0
		.amdhsa_exception_fp_denorm_src 0
		.amdhsa_exception_fp_ieee_div_zero 0
		.amdhsa_exception_fp_ieee_overflow 0
		.amdhsa_exception_fp_ieee_underflow 0
		.amdhsa_exception_fp_ieee_inexact 0
		.amdhsa_exception_int_div_zero 0
	.end_amdhsa_kernel
	.section	.text._Z16operation_kernelIiLj256ELj4EL23memory_operation_method1E9operationIL16kernel_operation4EiLj4ELj256EEEvPT_S5_T3_,"axG",@progbits,_Z16operation_kernelIiLj256ELj4EL23memory_operation_method1E9operationIL16kernel_operation4EiLj4ELj256EEEvPT_S5_T3_,comdat
.Lfunc_end86:
	.size	_Z16operation_kernelIiLj256ELj4EL23memory_operation_method1E9operationIL16kernel_operation4EiLj4ELj256EEEvPT_S5_T3_, .Lfunc_end86-_Z16operation_kernelIiLj256ELj4EL23memory_operation_method1E9operationIL16kernel_operation4EiLj4ELj256EEEvPT_S5_T3_
                                        ; -- End function
	.section	.AMDGPU.csdata,"",@progbits
; Kernel info:
; codeLenInByte = 180
; NumSgprs: 11
; NumVgprs: 7
; NumAgprs: 0
; TotalNumVgprs: 7
; ScratchSize: 0
; MemoryBound: 0
; FloatMode: 240
; IeeeMode: 1
; LDSByteSize: 0 bytes/workgroup (compile time only)
; SGPRBlocks: 1
; VGPRBlocks: 0
; NumSGPRsForWavesPerEU: 11
; NumVGPRsForWavesPerEU: 7
; AccumOffset: 8
; Occupancy: 8
; WaveLimiterHint : 1
; COMPUTE_PGM_RSRC2:SCRATCH_EN: 0
; COMPUTE_PGM_RSRC2:USER_SGPR: 6
; COMPUTE_PGM_RSRC2:TRAP_HANDLER: 0
; COMPUTE_PGM_RSRC2:TGID_X_EN: 1
; COMPUTE_PGM_RSRC2:TGID_Y_EN: 0
; COMPUTE_PGM_RSRC2:TGID_Z_EN: 0
; COMPUTE_PGM_RSRC2:TIDIG_COMP_CNT: 0
; COMPUTE_PGM_RSRC3_GFX90A:ACCUM_OFFSET: 1
; COMPUTE_PGM_RSRC3_GFX90A:TG_SPLIT: 0
	.section	.text._Z16operation_kernelIiLj256ELj8EL23memory_operation_method1E9operationIL16kernel_operation4EiLj8ELj256EEEvPT_S5_T3_,"axG",@progbits,_Z16operation_kernelIiLj256ELj8EL23memory_operation_method1E9operationIL16kernel_operation4EiLj8ELj256EEEvPT_S5_T3_,comdat
	.protected	_Z16operation_kernelIiLj256ELj8EL23memory_operation_method1E9operationIL16kernel_operation4EiLj8ELj256EEEvPT_S5_T3_ ; -- Begin function _Z16operation_kernelIiLj256ELj8EL23memory_operation_method1E9operationIL16kernel_operation4EiLj8ELj256EEEvPT_S5_T3_
	.globl	_Z16operation_kernelIiLj256ELj8EL23memory_operation_method1E9operationIL16kernel_operation4EiLj8ELj256EEEvPT_S5_T3_
	.p2align	8
	.type	_Z16operation_kernelIiLj256ELj8EL23memory_operation_method1E9operationIL16kernel_operation4EiLj8ELj256EEEvPT_S5_T3_,@function
_Z16operation_kernelIiLj256ELj8EL23memory_operation_method1E9operationIL16kernel_operation4EiLj8ELj256EEEvPT_S5_T3_: ; @_Z16operation_kernelIiLj256ELj8EL23memory_operation_method1E9operationIL16kernel_operation4EiLj8ELj256EEEvPT_S5_T3_
; %bb.0:
	s_load_dwordx4 s[0:3], s[4:5], 0x0
	s_lshl_b32 s4, s6, 11
	s_mov_b32 s5, 0
	s_lshl_b64 s[4:5], s[4:5], 2
	v_lshlrev_b32_e32 v1, 2, v0
	s_waitcnt lgkmcnt(0)
	s_add_u32 s0, s0, s4
	s_addc_u32 s1, s1, s5
	v_mov_b32_e32 v2, s1
	v_add_co_u32_e32 v3, vcc, s0, v1
	v_addc_co_u32_e32 v4, vcc, 0, v2, vcc
	s_movk_i32 s6, 0x1000
	v_add_co_u32_e32 v2, vcc, s6, v3
	v_addc_co_u32_e32 v3, vcc, 0, v4, vcc
	global_load_dword v4, v1, s[0:1]
	global_load_dword v5, v1, s[0:1] offset:1024
	global_load_dword v6, v1, s[0:1] offset:2048
	;; [unrolled: 1-line block ×3, first 2 shown]
	global_load_dword v8, v[2:3], off
	global_load_dword v9, v[2:3], off offset:1024
	global_load_dword v10, v[2:3], off offset:2048
	;; [unrolled: 1-line block ×3, first 2 shown]
	v_lshlrev_b32_e32 v0, 5, v0
	v_mov_b32_e32 v2, 0x29a
	global_atomic_add v0, v2, s[2:3]
	global_atomic_add v0, v2, s[2:3] offset:4
	global_atomic_add v0, v2, s[2:3] offset:8
	;; [unrolled: 1-line block ×7, first 2 shown]
	s_add_u32 s0, s2, s4
	s_addc_u32 s1, s3, s5
	v_mov_b32_e32 v0, s1
	v_add_co_u32_e32 v2, vcc, s0, v1
	v_addc_co_u32_e32 v3, vcc, 0, v0, vcc
	v_add_co_u32_e32 v0, vcc, 0x1000, v2
	s_barrier
	s_waitcnt vmcnt(15)
	global_store_dword v1, v4, s[0:1]
	s_waitcnt vmcnt(15)
	global_store_dword v1, v5, s[0:1] offset:1024
	s_waitcnt vmcnt(15)
	global_store_dword v1, v6, s[0:1] offset:2048
	;; [unrolled: 2-line block ×3, first 2 shown]
	v_addc_co_u32_e32 v1, vcc, 0, v3, vcc
	s_waitcnt vmcnt(15)
	global_store_dword v[0:1], v8, off
	s_waitcnt vmcnt(15)
	global_store_dword v[0:1], v9, off offset:1024
	s_waitcnt vmcnt(15)
	global_store_dword v[0:1], v10, off offset:2048
	;; [unrolled: 2-line block ×3, first 2 shown]
	s_endpgm
	.section	.rodata,"a",@progbits
	.p2align	6, 0x0
	.amdhsa_kernel _Z16operation_kernelIiLj256ELj8EL23memory_operation_method1E9operationIL16kernel_operation4EiLj8ELj256EEEvPT_S5_T3_
		.amdhsa_group_segment_fixed_size 0
		.amdhsa_private_segment_fixed_size 0
		.amdhsa_kernarg_size 20
		.amdhsa_user_sgpr_count 6
		.amdhsa_user_sgpr_private_segment_buffer 1
		.amdhsa_user_sgpr_dispatch_ptr 0
		.amdhsa_user_sgpr_queue_ptr 0
		.amdhsa_user_sgpr_kernarg_segment_ptr 1
		.amdhsa_user_sgpr_dispatch_id 0
		.amdhsa_user_sgpr_flat_scratch_init 0
		.amdhsa_user_sgpr_kernarg_preload_length 0
		.amdhsa_user_sgpr_kernarg_preload_offset 0
		.amdhsa_user_sgpr_private_segment_size 0
		.amdhsa_uses_dynamic_stack 0
		.amdhsa_system_sgpr_private_segment_wavefront_offset 0
		.amdhsa_system_sgpr_workgroup_id_x 1
		.amdhsa_system_sgpr_workgroup_id_y 0
		.amdhsa_system_sgpr_workgroup_id_z 0
		.amdhsa_system_sgpr_workgroup_info 0
		.amdhsa_system_vgpr_workitem_id 0
		.amdhsa_next_free_vgpr 12
		.amdhsa_next_free_sgpr 7
		.amdhsa_accum_offset 12
		.amdhsa_reserve_vcc 1
		.amdhsa_reserve_flat_scratch 0
		.amdhsa_float_round_mode_32 0
		.amdhsa_float_round_mode_16_64 0
		.amdhsa_float_denorm_mode_32 3
		.amdhsa_float_denorm_mode_16_64 3
		.amdhsa_dx10_clamp 1
		.amdhsa_ieee_mode 1
		.amdhsa_fp16_overflow 0
		.amdhsa_tg_split 0
		.amdhsa_exception_fp_ieee_invalid_op 0
		.amdhsa_exception_fp_denorm_src 0
		.amdhsa_exception_fp_ieee_div_zero 0
		.amdhsa_exception_fp_ieee_overflow 0
		.amdhsa_exception_fp_ieee_underflow 0
		.amdhsa_exception_fp_ieee_inexact 0
		.amdhsa_exception_int_div_zero 0
	.end_amdhsa_kernel
	.section	.text._Z16operation_kernelIiLj256ELj8EL23memory_operation_method1E9operationIL16kernel_operation4EiLj8ELj256EEEvPT_S5_T3_,"axG",@progbits,_Z16operation_kernelIiLj256ELj8EL23memory_operation_method1E9operationIL16kernel_operation4EiLj8ELj256EEEvPT_S5_T3_,comdat
.Lfunc_end87:
	.size	_Z16operation_kernelIiLj256ELj8EL23memory_operation_method1E9operationIL16kernel_operation4EiLj8ELj256EEEvPT_S5_T3_, .Lfunc_end87-_Z16operation_kernelIiLj256ELj8EL23memory_operation_method1E9operationIL16kernel_operation4EiLj8ELj256EEEvPT_S5_T3_
                                        ; -- End function
	.section	.AMDGPU.csdata,"",@progbits
; Kernel info:
; codeLenInByte = 336
; NumSgprs: 11
; NumVgprs: 12
; NumAgprs: 0
; TotalNumVgprs: 12
; ScratchSize: 0
; MemoryBound: 1
; FloatMode: 240
; IeeeMode: 1
; LDSByteSize: 0 bytes/workgroup (compile time only)
; SGPRBlocks: 1
; VGPRBlocks: 1
; NumSGPRsForWavesPerEU: 11
; NumVGPRsForWavesPerEU: 12
; AccumOffset: 12
; Occupancy: 8
; WaveLimiterHint : 1
; COMPUTE_PGM_RSRC2:SCRATCH_EN: 0
; COMPUTE_PGM_RSRC2:USER_SGPR: 6
; COMPUTE_PGM_RSRC2:TRAP_HANDLER: 0
; COMPUTE_PGM_RSRC2:TGID_X_EN: 1
; COMPUTE_PGM_RSRC2:TGID_Y_EN: 0
; COMPUTE_PGM_RSRC2:TGID_Z_EN: 0
; COMPUTE_PGM_RSRC2:TIDIG_COMP_CNT: 0
; COMPUTE_PGM_RSRC3_GFX90A:ACCUM_OFFSET: 2
; COMPUTE_PGM_RSRC3_GFX90A:TG_SPLIT: 0
	.section	.text._Z16operation_kernelIiLj256ELj1EL23memory_operation_method2E9operationIL16kernel_operation4EiLj1ELj256EEEvPT_S5_T3_,"axG",@progbits,_Z16operation_kernelIiLj256ELj1EL23memory_operation_method2E9operationIL16kernel_operation4EiLj1ELj256EEEvPT_S5_T3_,comdat
	.protected	_Z16operation_kernelIiLj256ELj1EL23memory_operation_method2E9operationIL16kernel_operation4EiLj1ELj256EEEvPT_S5_T3_ ; -- Begin function _Z16operation_kernelIiLj256ELj1EL23memory_operation_method2E9operationIL16kernel_operation4EiLj1ELj256EEEvPT_S5_T3_
	.globl	_Z16operation_kernelIiLj256ELj1EL23memory_operation_method2E9operationIL16kernel_operation4EiLj1ELj256EEEvPT_S5_T3_
	.p2align	8
	.type	_Z16operation_kernelIiLj256ELj1EL23memory_operation_method2E9operationIL16kernel_operation4EiLj1ELj256EEEvPT_S5_T3_,@function
_Z16operation_kernelIiLj256ELj1EL23memory_operation_method2E9operationIL16kernel_operation4EiLj1ELj256EEEvPT_S5_T3_: ; @_Z16operation_kernelIiLj256ELj1EL23memory_operation_method2E9operationIL16kernel_operation4EiLj1ELj256EEEvPT_S5_T3_
; %bb.0:
	s_load_dwordx4 s[0:3], s[4:5], 0x0
	s_lshl_b32 s4, s6, 8
	s_mov_b32 s5, 0
	s_lshl_b64 s[4:5], s[4:5], 2
	v_lshlrev_b32_e32 v0, 2, v0
	s_waitcnt lgkmcnt(0)
	s_add_u32 s0, s0, s4
	s_addc_u32 s1, s1, s5
	global_load_dword v1, v0, s[0:1]
	v_mov_b32_e32 v2, 0x29a
	global_atomic_add v0, v2, s[2:3]
	s_add_u32 s0, s2, s4
	s_addc_u32 s1, s3, s5
	s_barrier
	s_waitcnt vmcnt(1)
	global_store_dword v0, v1, s[0:1]
	s_endpgm
	.section	.rodata,"a",@progbits
	.p2align	6, 0x0
	.amdhsa_kernel _Z16operation_kernelIiLj256ELj1EL23memory_operation_method2E9operationIL16kernel_operation4EiLj1ELj256EEEvPT_S5_T3_
		.amdhsa_group_segment_fixed_size 0
		.amdhsa_private_segment_fixed_size 0
		.amdhsa_kernarg_size 20
		.amdhsa_user_sgpr_count 6
		.amdhsa_user_sgpr_private_segment_buffer 1
		.amdhsa_user_sgpr_dispatch_ptr 0
		.amdhsa_user_sgpr_queue_ptr 0
		.amdhsa_user_sgpr_kernarg_segment_ptr 1
		.amdhsa_user_sgpr_dispatch_id 0
		.amdhsa_user_sgpr_flat_scratch_init 0
		.amdhsa_user_sgpr_kernarg_preload_length 0
		.amdhsa_user_sgpr_kernarg_preload_offset 0
		.amdhsa_user_sgpr_private_segment_size 0
		.amdhsa_uses_dynamic_stack 0
		.amdhsa_system_sgpr_private_segment_wavefront_offset 0
		.amdhsa_system_sgpr_workgroup_id_x 1
		.amdhsa_system_sgpr_workgroup_id_y 0
		.amdhsa_system_sgpr_workgroup_id_z 0
		.amdhsa_system_sgpr_workgroup_info 0
		.amdhsa_system_vgpr_workitem_id 0
		.amdhsa_next_free_vgpr 3
		.amdhsa_next_free_sgpr 7
		.amdhsa_accum_offset 4
		.amdhsa_reserve_vcc 0
		.amdhsa_reserve_flat_scratch 0
		.amdhsa_float_round_mode_32 0
		.amdhsa_float_round_mode_16_64 0
		.amdhsa_float_denorm_mode_32 3
		.amdhsa_float_denorm_mode_16_64 3
		.amdhsa_dx10_clamp 1
		.amdhsa_ieee_mode 1
		.amdhsa_fp16_overflow 0
		.amdhsa_tg_split 0
		.amdhsa_exception_fp_ieee_invalid_op 0
		.amdhsa_exception_fp_denorm_src 0
		.amdhsa_exception_fp_ieee_div_zero 0
		.amdhsa_exception_fp_ieee_overflow 0
		.amdhsa_exception_fp_ieee_underflow 0
		.amdhsa_exception_fp_ieee_inexact 0
		.amdhsa_exception_int_div_zero 0
	.end_amdhsa_kernel
	.section	.text._Z16operation_kernelIiLj256ELj1EL23memory_operation_method2E9operationIL16kernel_operation4EiLj1ELj256EEEvPT_S5_T3_,"axG",@progbits,_Z16operation_kernelIiLj256ELj1EL23memory_operation_method2E9operationIL16kernel_operation4EiLj1ELj256EEEvPT_S5_T3_,comdat
.Lfunc_end88:
	.size	_Z16operation_kernelIiLj256ELj1EL23memory_operation_method2E9operationIL16kernel_operation4EiLj1ELj256EEEvPT_S5_T3_, .Lfunc_end88-_Z16operation_kernelIiLj256ELj1EL23memory_operation_method2E9operationIL16kernel_operation4EiLj1ELj256EEEvPT_S5_T3_
                                        ; -- End function
	.section	.AMDGPU.csdata,"",@progbits
; Kernel info:
; codeLenInByte = 88
; NumSgprs: 11
; NumVgprs: 3
; NumAgprs: 0
; TotalNumVgprs: 3
; ScratchSize: 0
; MemoryBound: 0
; FloatMode: 240
; IeeeMode: 1
; LDSByteSize: 0 bytes/workgroup (compile time only)
; SGPRBlocks: 1
; VGPRBlocks: 0
; NumSGPRsForWavesPerEU: 11
; NumVGPRsForWavesPerEU: 3
; AccumOffset: 4
; Occupancy: 8
; WaveLimiterHint : 0
; COMPUTE_PGM_RSRC2:SCRATCH_EN: 0
; COMPUTE_PGM_RSRC2:USER_SGPR: 6
; COMPUTE_PGM_RSRC2:TRAP_HANDLER: 0
; COMPUTE_PGM_RSRC2:TGID_X_EN: 1
; COMPUTE_PGM_RSRC2:TGID_Y_EN: 0
; COMPUTE_PGM_RSRC2:TGID_Z_EN: 0
; COMPUTE_PGM_RSRC2:TIDIG_COMP_CNT: 0
; COMPUTE_PGM_RSRC3_GFX90A:ACCUM_OFFSET: 0
; COMPUTE_PGM_RSRC3_GFX90A:TG_SPLIT: 0
	.section	.text._Z16operation_kernelIiLj256ELj2EL23memory_operation_method2E9operationIL16kernel_operation4EiLj2ELj256EEEvPT_S5_T3_,"axG",@progbits,_Z16operation_kernelIiLj256ELj2EL23memory_operation_method2E9operationIL16kernel_operation4EiLj2ELj256EEEvPT_S5_T3_,comdat
	.protected	_Z16operation_kernelIiLj256ELj2EL23memory_operation_method2E9operationIL16kernel_operation4EiLj2ELj256EEEvPT_S5_T3_ ; -- Begin function _Z16operation_kernelIiLj256ELj2EL23memory_operation_method2E9operationIL16kernel_operation4EiLj2ELj256EEEvPT_S5_T3_
	.globl	_Z16operation_kernelIiLj256ELj2EL23memory_operation_method2E9operationIL16kernel_operation4EiLj2ELj256EEEvPT_S5_T3_
	.p2align	8
	.type	_Z16operation_kernelIiLj256ELj2EL23memory_operation_method2E9operationIL16kernel_operation4EiLj2ELj256EEEvPT_S5_T3_,@function
_Z16operation_kernelIiLj256ELj2EL23memory_operation_method2E9operationIL16kernel_operation4EiLj2ELj256EEEvPT_S5_T3_: ; @_Z16operation_kernelIiLj256ELj2EL23memory_operation_method2E9operationIL16kernel_operation4EiLj2ELj256EEEvPT_S5_T3_
; %bb.0:
	s_load_dwordx4 s[0:3], s[4:5], 0x0
	s_lshl_b32 s4, s6, 9
	s_mov_b32 s5, 0
	s_lshl_b64 s[4:5], s[4:5], 2
	v_lshlrev_b32_e32 v2, 3, v0
	s_waitcnt lgkmcnt(0)
	s_add_u32 s0, s0, s4
	s_addc_u32 s1, s1, s5
	v_mov_b32_e32 v3, 0x29a
	global_load_dwordx2 v[0:1], v2, s[0:1]
	s_nop 0
	global_atomic_add v2, v3, s[2:3]
	global_atomic_add v2, v3, s[2:3] offset:4
	s_add_u32 s0, s2, s4
	s_addc_u32 s1, s3, s5
	s_barrier
	s_waitcnt vmcnt(2)
	global_store_dwordx2 v2, v[0:1], s[0:1]
	s_endpgm
	.section	.rodata,"a",@progbits
	.p2align	6, 0x0
	.amdhsa_kernel _Z16operation_kernelIiLj256ELj2EL23memory_operation_method2E9operationIL16kernel_operation4EiLj2ELj256EEEvPT_S5_T3_
		.amdhsa_group_segment_fixed_size 0
		.amdhsa_private_segment_fixed_size 0
		.amdhsa_kernarg_size 20
		.amdhsa_user_sgpr_count 6
		.amdhsa_user_sgpr_private_segment_buffer 1
		.amdhsa_user_sgpr_dispatch_ptr 0
		.amdhsa_user_sgpr_queue_ptr 0
		.amdhsa_user_sgpr_kernarg_segment_ptr 1
		.amdhsa_user_sgpr_dispatch_id 0
		.amdhsa_user_sgpr_flat_scratch_init 0
		.amdhsa_user_sgpr_kernarg_preload_length 0
		.amdhsa_user_sgpr_kernarg_preload_offset 0
		.amdhsa_user_sgpr_private_segment_size 0
		.amdhsa_uses_dynamic_stack 0
		.amdhsa_system_sgpr_private_segment_wavefront_offset 0
		.amdhsa_system_sgpr_workgroup_id_x 1
		.amdhsa_system_sgpr_workgroup_id_y 0
		.amdhsa_system_sgpr_workgroup_id_z 0
		.amdhsa_system_sgpr_workgroup_info 0
		.amdhsa_system_vgpr_workitem_id 0
		.amdhsa_next_free_vgpr 4
		.amdhsa_next_free_sgpr 7
		.amdhsa_accum_offset 4
		.amdhsa_reserve_vcc 0
		.amdhsa_reserve_flat_scratch 0
		.amdhsa_float_round_mode_32 0
		.amdhsa_float_round_mode_16_64 0
		.amdhsa_float_denorm_mode_32 3
		.amdhsa_float_denorm_mode_16_64 3
		.amdhsa_dx10_clamp 1
		.amdhsa_ieee_mode 1
		.amdhsa_fp16_overflow 0
		.amdhsa_tg_split 0
		.amdhsa_exception_fp_ieee_invalid_op 0
		.amdhsa_exception_fp_denorm_src 0
		.amdhsa_exception_fp_ieee_div_zero 0
		.amdhsa_exception_fp_ieee_overflow 0
		.amdhsa_exception_fp_ieee_underflow 0
		.amdhsa_exception_fp_ieee_inexact 0
		.amdhsa_exception_int_div_zero 0
	.end_amdhsa_kernel
	.section	.text._Z16operation_kernelIiLj256ELj2EL23memory_operation_method2E9operationIL16kernel_operation4EiLj2ELj256EEEvPT_S5_T3_,"axG",@progbits,_Z16operation_kernelIiLj256ELj2EL23memory_operation_method2E9operationIL16kernel_operation4EiLj2ELj256EEEvPT_S5_T3_,comdat
.Lfunc_end89:
	.size	_Z16operation_kernelIiLj256ELj2EL23memory_operation_method2E9operationIL16kernel_operation4EiLj2ELj256EEEvPT_S5_T3_, .Lfunc_end89-_Z16operation_kernelIiLj256ELj2EL23memory_operation_method2E9operationIL16kernel_operation4EiLj2ELj256EEEvPT_S5_T3_
                                        ; -- End function
	.section	.AMDGPU.csdata,"",@progbits
; Kernel info:
; codeLenInByte = 100
; NumSgprs: 11
; NumVgprs: 4
; NumAgprs: 0
; TotalNumVgprs: 4
; ScratchSize: 0
; MemoryBound: 0
; FloatMode: 240
; IeeeMode: 1
; LDSByteSize: 0 bytes/workgroup (compile time only)
; SGPRBlocks: 1
; VGPRBlocks: 0
; NumSGPRsForWavesPerEU: 11
; NumVGPRsForWavesPerEU: 4
; AccumOffset: 4
; Occupancy: 8
; WaveLimiterHint : 0
; COMPUTE_PGM_RSRC2:SCRATCH_EN: 0
; COMPUTE_PGM_RSRC2:USER_SGPR: 6
; COMPUTE_PGM_RSRC2:TRAP_HANDLER: 0
; COMPUTE_PGM_RSRC2:TGID_X_EN: 1
; COMPUTE_PGM_RSRC2:TGID_Y_EN: 0
; COMPUTE_PGM_RSRC2:TGID_Z_EN: 0
; COMPUTE_PGM_RSRC2:TIDIG_COMP_CNT: 0
; COMPUTE_PGM_RSRC3_GFX90A:ACCUM_OFFSET: 0
; COMPUTE_PGM_RSRC3_GFX90A:TG_SPLIT: 0
	.section	.text._Z16operation_kernelIiLj256ELj4EL23memory_operation_method2E9operationIL16kernel_operation4EiLj4ELj256EEEvPT_S5_T3_,"axG",@progbits,_Z16operation_kernelIiLj256ELj4EL23memory_operation_method2E9operationIL16kernel_operation4EiLj4ELj256EEEvPT_S5_T3_,comdat
	.protected	_Z16operation_kernelIiLj256ELj4EL23memory_operation_method2E9operationIL16kernel_operation4EiLj4ELj256EEEvPT_S5_T3_ ; -- Begin function _Z16operation_kernelIiLj256ELj4EL23memory_operation_method2E9operationIL16kernel_operation4EiLj4ELj256EEEvPT_S5_T3_
	.globl	_Z16operation_kernelIiLj256ELj4EL23memory_operation_method2E9operationIL16kernel_operation4EiLj4ELj256EEEvPT_S5_T3_
	.p2align	8
	.type	_Z16operation_kernelIiLj256ELj4EL23memory_operation_method2E9operationIL16kernel_operation4EiLj4ELj256EEEvPT_S5_T3_,@function
_Z16operation_kernelIiLj256ELj4EL23memory_operation_method2E9operationIL16kernel_operation4EiLj4ELj256EEEvPT_S5_T3_: ; @_Z16operation_kernelIiLj256ELj4EL23memory_operation_method2E9operationIL16kernel_operation4EiLj4ELj256EEEvPT_S5_T3_
; %bb.0:
	s_load_dwordx4 s[0:3], s[4:5], 0x0
	s_lshl_b32 s4, s6, 10
	s_mov_b32 s5, 0
	s_lshl_b64 s[4:5], s[4:5], 2
	v_lshlrev_b32_e32 v4, 4, v0
	s_waitcnt lgkmcnt(0)
	s_add_u32 s0, s0, s4
	s_addc_u32 s1, s1, s5
	v_mov_b32_e32 v5, 0x29a
	global_load_dwordx4 v[0:3], v4, s[0:1]
	s_nop 0
	global_atomic_add v4, v5, s[2:3]
	global_atomic_add v4, v5, s[2:3] offset:4
	global_atomic_add v4, v5, s[2:3] offset:8
	;; [unrolled: 1-line block ×3, first 2 shown]
	s_add_u32 s0, s2, s4
	s_addc_u32 s1, s3, s5
	s_barrier
	s_waitcnt vmcnt(4)
	global_store_dwordx4 v4, v[0:3], s[0:1]
	s_endpgm
	.section	.rodata,"a",@progbits
	.p2align	6, 0x0
	.amdhsa_kernel _Z16operation_kernelIiLj256ELj4EL23memory_operation_method2E9operationIL16kernel_operation4EiLj4ELj256EEEvPT_S5_T3_
		.amdhsa_group_segment_fixed_size 0
		.amdhsa_private_segment_fixed_size 0
		.amdhsa_kernarg_size 20
		.amdhsa_user_sgpr_count 6
		.amdhsa_user_sgpr_private_segment_buffer 1
		.amdhsa_user_sgpr_dispatch_ptr 0
		.amdhsa_user_sgpr_queue_ptr 0
		.amdhsa_user_sgpr_kernarg_segment_ptr 1
		.amdhsa_user_sgpr_dispatch_id 0
		.amdhsa_user_sgpr_flat_scratch_init 0
		.amdhsa_user_sgpr_kernarg_preload_length 0
		.amdhsa_user_sgpr_kernarg_preload_offset 0
		.amdhsa_user_sgpr_private_segment_size 0
		.amdhsa_uses_dynamic_stack 0
		.amdhsa_system_sgpr_private_segment_wavefront_offset 0
		.amdhsa_system_sgpr_workgroup_id_x 1
		.amdhsa_system_sgpr_workgroup_id_y 0
		.amdhsa_system_sgpr_workgroup_id_z 0
		.amdhsa_system_sgpr_workgroup_info 0
		.amdhsa_system_vgpr_workitem_id 0
		.amdhsa_next_free_vgpr 6
		.amdhsa_next_free_sgpr 7
		.amdhsa_accum_offset 8
		.amdhsa_reserve_vcc 0
		.amdhsa_reserve_flat_scratch 0
		.amdhsa_float_round_mode_32 0
		.amdhsa_float_round_mode_16_64 0
		.amdhsa_float_denorm_mode_32 3
		.amdhsa_float_denorm_mode_16_64 3
		.amdhsa_dx10_clamp 1
		.amdhsa_ieee_mode 1
		.amdhsa_fp16_overflow 0
		.amdhsa_tg_split 0
		.amdhsa_exception_fp_ieee_invalid_op 0
		.amdhsa_exception_fp_denorm_src 0
		.amdhsa_exception_fp_ieee_div_zero 0
		.amdhsa_exception_fp_ieee_overflow 0
		.amdhsa_exception_fp_ieee_underflow 0
		.amdhsa_exception_fp_ieee_inexact 0
		.amdhsa_exception_int_div_zero 0
	.end_amdhsa_kernel
	.section	.text._Z16operation_kernelIiLj256ELj4EL23memory_operation_method2E9operationIL16kernel_operation4EiLj4ELj256EEEvPT_S5_T3_,"axG",@progbits,_Z16operation_kernelIiLj256ELj4EL23memory_operation_method2E9operationIL16kernel_operation4EiLj4ELj256EEEvPT_S5_T3_,comdat
.Lfunc_end90:
	.size	_Z16operation_kernelIiLj256ELj4EL23memory_operation_method2E9operationIL16kernel_operation4EiLj4ELj256EEEvPT_S5_T3_, .Lfunc_end90-_Z16operation_kernelIiLj256ELj4EL23memory_operation_method2E9operationIL16kernel_operation4EiLj4ELj256EEEvPT_S5_T3_
                                        ; -- End function
	.section	.AMDGPU.csdata,"",@progbits
; Kernel info:
; codeLenInByte = 116
; NumSgprs: 11
; NumVgprs: 6
; NumAgprs: 0
; TotalNumVgprs: 6
; ScratchSize: 0
; MemoryBound: 0
; FloatMode: 240
; IeeeMode: 1
; LDSByteSize: 0 bytes/workgroup (compile time only)
; SGPRBlocks: 1
; VGPRBlocks: 0
; NumSGPRsForWavesPerEU: 11
; NumVGPRsForWavesPerEU: 6
; AccumOffset: 8
; Occupancy: 8
; WaveLimiterHint : 0
; COMPUTE_PGM_RSRC2:SCRATCH_EN: 0
; COMPUTE_PGM_RSRC2:USER_SGPR: 6
; COMPUTE_PGM_RSRC2:TRAP_HANDLER: 0
; COMPUTE_PGM_RSRC2:TGID_X_EN: 1
; COMPUTE_PGM_RSRC2:TGID_Y_EN: 0
; COMPUTE_PGM_RSRC2:TGID_Z_EN: 0
; COMPUTE_PGM_RSRC2:TIDIG_COMP_CNT: 0
; COMPUTE_PGM_RSRC3_GFX90A:ACCUM_OFFSET: 1
; COMPUTE_PGM_RSRC3_GFX90A:TG_SPLIT: 0
	.section	.text._Z16operation_kernelIiLj256ELj8EL23memory_operation_method2E9operationIL16kernel_operation4EiLj8ELj256EEEvPT_S5_T3_,"axG",@progbits,_Z16operation_kernelIiLj256ELj8EL23memory_operation_method2E9operationIL16kernel_operation4EiLj8ELj256EEEvPT_S5_T3_,comdat
	.protected	_Z16operation_kernelIiLj256ELj8EL23memory_operation_method2E9operationIL16kernel_operation4EiLj8ELj256EEEvPT_S5_T3_ ; -- Begin function _Z16operation_kernelIiLj256ELj8EL23memory_operation_method2E9operationIL16kernel_operation4EiLj8ELj256EEEvPT_S5_T3_
	.globl	_Z16operation_kernelIiLj256ELj8EL23memory_operation_method2E9operationIL16kernel_operation4EiLj8ELj256EEEvPT_S5_T3_
	.p2align	8
	.type	_Z16operation_kernelIiLj256ELj8EL23memory_operation_method2E9operationIL16kernel_operation4EiLj8ELj256EEEvPT_S5_T3_,@function
_Z16operation_kernelIiLj256ELj8EL23memory_operation_method2E9operationIL16kernel_operation4EiLj8ELj256EEEvPT_S5_T3_: ; @_Z16operation_kernelIiLj256ELj8EL23memory_operation_method2E9operationIL16kernel_operation4EiLj8ELj256EEEvPT_S5_T3_
; %bb.0:
	s_load_dwordx4 s[0:3], s[4:5], 0x0
	s_lshl_b32 s4, s6, 11
	s_mov_b32 s5, 0
	s_lshl_b64 s[4:5], s[4:5], 2
	v_lshlrev_b32_e32 v8, 5, v0
	s_waitcnt lgkmcnt(0)
	s_add_u32 s0, s0, s4
	s_addc_u32 s1, s1, s5
	v_mov_b32_e32 v9, 0x29a
	global_load_dwordx4 v[0:3], v8, s[0:1] offset:16
	global_load_dwordx4 v[4:7], v8, s[0:1]
	s_nop 0
	global_atomic_add v8, v9, s[2:3]
	global_atomic_add v8, v9, s[2:3] offset:4
	global_atomic_add v8, v9, s[2:3] offset:8
	;; [unrolled: 1-line block ×7, first 2 shown]
	s_add_u32 s0, s2, s4
	s_addc_u32 s1, s3, s5
	s_barrier
	s_waitcnt vmcnt(8)
	global_store_dwordx4 v8, v[4:7], s[0:1]
	global_store_dwordx4 v8, v[0:3], s[0:1] offset:16
	s_endpgm
	.section	.rodata,"a",@progbits
	.p2align	6, 0x0
	.amdhsa_kernel _Z16operation_kernelIiLj256ELj8EL23memory_operation_method2E9operationIL16kernel_operation4EiLj8ELj256EEEvPT_S5_T3_
		.amdhsa_group_segment_fixed_size 0
		.amdhsa_private_segment_fixed_size 0
		.amdhsa_kernarg_size 20
		.amdhsa_user_sgpr_count 6
		.amdhsa_user_sgpr_private_segment_buffer 1
		.amdhsa_user_sgpr_dispatch_ptr 0
		.amdhsa_user_sgpr_queue_ptr 0
		.amdhsa_user_sgpr_kernarg_segment_ptr 1
		.amdhsa_user_sgpr_dispatch_id 0
		.amdhsa_user_sgpr_flat_scratch_init 0
		.amdhsa_user_sgpr_kernarg_preload_length 0
		.amdhsa_user_sgpr_kernarg_preload_offset 0
		.amdhsa_user_sgpr_private_segment_size 0
		.amdhsa_uses_dynamic_stack 0
		.amdhsa_system_sgpr_private_segment_wavefront_offset 0
		.amdhsa_system_sgpr_workgroup_id_x 1
		.amdhsa_system_sgpr_workgroup_id_y 0
		.amdhsa_system_sgpr_workgroup_id_z 0
		.amdhsa_system_sgpr_workgroup_info 0
		.amdhsa_system_vgpr_workitem_id 0
		.amdhsa_next_free_vgpr 10
		.amdhsa_next_free_sgpr 7
		.amdhsa_accum_offset 12
		.amdhsa_reserve_vcc 0
		.amdhsa_reserve_flat_scratch 0
		.amdhsa_float_round_mode_32 0
		.amdhsa_float_round_mode_16_64 0
		.amdhsa_float_denorm_mode_32 3
		.amdhsa_float_denorm_mode_16_64 3
		.amdhsa_dx10_clamp 1
		.amdhsa_ieee_mode 1
		.amdhsa_fp16_overflow 0
		.amdhsa_tg_split 0
		.amdhsa_exception_fp_ieee_invalid_op 0
		.amdhsa_exception_fp_denorm_src 0
		.amdhsa_exception_fp_ieee_div_zero 0
		.amdhsa_exception_fp_ieee_overflow 0
		.amdhsa_exception_fp_ieee_underflow 0
		.amdhsa_exception_fp_ieee_inexact 0
		.amdhsa_exception_int_div_zero 0
	.end_amdhsa_kernel
	.section	.text._Z16operation_kernelIiLj256ELj8EL23memory_operation_method2E9operationIL16kernel_operation4EiLj8ELj256EEEvPT_S5_T3_,"axG",@progbits,_Z16operation_kernelIiLj256ELj8EL23memory_operation_method2E9operationIL16kernel_operation4EiLj8ELj256EEEvPT_S5_T3_,comdat
.Lfunc_end91:
	.size	_Z16operation_kernelIiLj256ELj8EL23memory_operation_method2E9operationIL16kernel_operation4EiLj8ELj256EEEvPT_S5_T3_, .Lfunc_end91-_Z16operation_kernelIiLj256ELj8EL23memory_operation_method2E9operationIL16kernel_operation4EiLj8ELj256EEEvPT_S5_T3_
                                        ; -- End function
	.section	.AMDGPU.csdata,"",@progbits
; Kernel info:
; codeLenInByte = 164
; NumSgprs: 11
; NumVgprs: 10
; NumAgprs: 0
; TotalNumVgprs: 10
; ScratchSize: 0
; MemoryBound: 0
; FloatMode: 240
; IeeeMode: 1
; LDSByteSize: 0 bytes/workgroup (compile time only)
; SGPRBlocks: 1
; VGPRBlocks: 1
; NumSGPRsForWavesPerEU: 11
; NumVGPRsForWavesPerEU: 10
; AccumOffset: 12
; Occupancy: 8
; WaveLimiterHint : 0
; COMPUTE_PGM_RSRC2:SCRATCH_EN: 0
; COMPUTE_PGM_RSRC2:USER_SGPR: 6
; COMPUTE_PGM_RSRC2:TRAP_HANDLER: 0
; COMPUTE_PGM_RSRC2:TGID_X_EN: 1
; COMPUTE_PGM_RSRC2:TGID_Y_EN: 0
; COMPUTE_PGM_RSRC2:TGID_Z_EN: 0
; COMPUTE_PGM_RSRC2:TIDIG_COMP_CNT: 0
; COMPUTE_PGM_RSRC3_GFX90A:ACCUM_OFFSET: 2
; COMPUTE_PGM_RSRC3_GFX90A:TG_SPLIT: 0
	.section	.text._Z16operation_kernelIiLj256ELj1EL23memory_operation_method3E9operationIL16kernel_operation4EiLj1ELj256EEEvPT_S5_T3_,"axG",@progbits,_Z16operation_kernelIiLj256ELj1EL23memory_operation_method3E9operationIL16kernel_operation4EiLj1ELj256EEEvPT_S5_T3_,comdat
	.protected	_Z16operation_kernelIiLj256ELj1EL23memory_operation_method3E9operationIL16kernel_operation4EiLj1ELj256EEEvPT_S5_T3_ ; -- Begin function _Z16operation_kernelIiLj256ELj1EL23memory_operation_method3E9operationIL16kernel_operation4EiLj1ELj256EEEvPT_S5_T3_
	.globl	_Z16operation_kernelIiLj256ELj1EL23memory_operation_method3E9operationIL16kernel_operation4EiLj1ELj256EEEvPT_S5_T3_
	.p2align	8
	.type	_Z16operation_kernelIiLj256ELj1EL23memory_operation_method3E9operationIL16kernel_operation4EiLj1ELj256EEEvPT_S5_T3_,@function
_Z16operation_kernelIiLj256ELj1EL23memory_operation_method3E9operationIL16kernel_operation4EiLj1ELj256EEEvPT_S5_T3_: ; @_Z16operation_kernelIiLj256ELj1EL23memory_operation_method3E9operationIL16kernel_operation4EiLj1ELj256EEEvPT_S5_T3_
; %bb.0:
	s_load_dwordx4 s[0:3], s[4:5], 0x0
	s_lshl_b32 s4, s6, 8
	s_mov_b32 s5, 0
	s_lshl_b64 s[4:5], s[4:5], 2
	v_lshlrev_b32_e32 v0, 2, v0
	s_waitcnt lgkmcnt(0)
	s_add_u32 s0, s0, s4
	s_addc_u32 s1, s1, s5
	global_load_dword v1, v0, s[0:1]
	v_mov_b32_e32 v2, 0x29a
	s_add_u32 s0, s2, s4
	s_addc_u32 s1, s3, s5
	s_waitcnt vmcnt(0)
	ds_write_b32 v0, v1
	s_waitcnt lgkmcnt(0)
	s_barrier
	ds_read_b32 v1, v0
	global_atomic_add v0, v2, s[2:3]
	s_waitcnt lgkmcnt(0)
	s_barrier
	ds_write_b32 v0, v1
	s_waitcnt lgkmcnt(0)
	s_barrier
	ds_read_b32 v1, v0
	s_waitcnt lgkmcnt(0)
	global_store_dword v0, v1, s[0:1]
	s_endpgm
	.section	.rodata,"a",@progbits
	.p2align	6, 0x0
	.amdhsa_kernel _Z16operation_kernelIiLj256ELj1EL23memory_operation_method3E9operationIL16kernel_operation4EiLj1ELj256EEEvPT_S5_T3_
		.amdhsa_group_segment_fixed_size 1024
		.amdhsa_private_segment_fixed_size 0
		.amdhsa_kernarg_size 20
		.amdhsa_user_sgpr_count 6
		.amdhsa_user_sgpr_private_segment_buffer 1
		.amdhsa_user_sgpr_dispatch_ptr 0
		.amdhsa_user_sgpr_queue_ptr 0
		.amdhsa_user_sgpr_kernarg_segment_ptr 1
		.amdhsa_user_sgpr_dispatch_id 0
		.amdhsa_user_sgpr_flat_scratch_init 0
		.amdhsa_user_sgpr_kernarg_preload_length 0
		.amdhsa_user_sgpr_kernarg_preload_offset 0
		.amdhsa_user_sgpr_private_segment_size 0
		.amdhsa_uses_dynamic_stack 0
		.amdhsa_system_sgpr_private_segment_wavefront_offset 0
		.amdhsa_system_sgpr_workgroup_id_x 1
		.amdhsa_system_sgpr_workgroup_id_y 0
		.amdhsa_system_sgpr_workgroup_id_z 0
		.amdhsa_system_sgpr_workgroup_info 0
		.amdhsa_system_vgpr_workitem_id 0
		.amdhsa_next_free_vgpr 3
		.amdhsa_next_free_sgpr 7
		.amdhsa_accum_offset 4
		.amdhsa_reserve_vcc 0
		.amdhsa_reserve_flat_scratch 0
		.amdhsa_float_round_mode_32 0
		.amdhsa_float_round_mode_16_64 0
		.amdhsa_float_denorm_mode_32 3
		.amdhsa_float_denorm_mode_16_64 3
		.amdhsa_dx10_clamp 1
		.amdhsa_ieee_mode 1
		.amdhsa_fp16_overflow 0
		.amdhsa_tg_split 0
		.amdhsa_exception_fp_ieee_invalid_op 0
		.amdhsa_exception_fp_denorm_src 0
		.amdhsa_exception_fp_ieee_div_zero 0
		.amdhsa_exception_fp_ieee_overflow 0
		.amdhsa_exception_fp_ieee_underflow 0
		.amdhsa_exception_fp_ieee_inexact 0
		.amdhsa_exception_int_div_zero 0
	.end_amdhsa_kernel
	.section	.text._Z16operation_kernelIiLj256ELj1EL23memory_operation_method3E9operationIL16kernel_operation4EiLj1ELj256EEEvPT_S5_T3_,"axG",@progbits,_Z16operation_kernelIiLj256ELj1EL23memory_operation_method3E9operationIL16kernel_operation4EiLj1ELj256EEEvPT_S5_T3_,comdat
.Lfunc_end92:
	.size	_Z16operation_kernelIiLj256ELj1EL23memory_operation_method3E9operationIL16kernel_operation4EiLj1ELj256EEEvPT_S5_T3_, .Lfunc_end92-_Z16operation_kernelIiLj256ELj1EL23memory_operation_method3E9operationIL16kernel_operation4EiLj1ELj256EEEvPT_S5_T3_
                                        ; -- End function
	.section	.AMDGPU.csdata,"",@progbits
; Kernel info:
; codeLenInByte = 144
; NumSgprs: 11
; NumVgprs: 3
; NumAgprs: 0
; TotalNumVgprs: 3
; ScratchSize: 0
; MemoryBound: 0
; FloatMode: 240
; IeeeMode: 1
; LDSByteSize: 1024 bytes/workgroup (compile time only)
; SGPRBlocks: 1
; VGPRBlocks: 0
; NumSGPRsForWavesPerEU: 11
; NumVGPRsForWavesPerEU: 3
; AccumOffset: 4
; Occupancy: 8
; WaveLimiterHint : 0
; COMPUTE_PGM_RSRC2:SCRATCH_EN: 0
; COMPUTE_PGM_RSRC2:USER_SGPR: 6
; COMPUTE_PGM_RSRC2:TRAP_HANDLER: 0
; COMPUTE_PGM_RSRC2:TGID_X_EN: 1
; COMPUTE_PGM_RSRC2:TGID_Y_EN: 0
; COMPUTE_PGM_RSRC2:TGID_Z_EN: 0
; COMPUTE_PGM_RSRC2:TIDIG_COMP_CNT: 0
; COMPUTE_PGM_RSRC3_GFX90A:ACCUM_OFFSET: 0
; COMPUTE_PGM_RSRC3_GFX90A:TG_SPLIT: 0
	.section	.text._Z16operation_kernelIiLj256ELj2EL23memory_operation_method3E9operationIL16kernel_operation4EiLj2ELj256EEEvPT_S5_T3_,"axG",@progbits,_Z16operation_kernelIiLj256ELj2EL23memory_operation_method3E9operationIL16kernel_operation4EiLj2ELj256EEEvPT_S5_T3_,comdat
	.protected	_Z16operation_kernelIiLj256ELj2EL23memory_operation_method3E9operationIL16kernel_operation4EiLj2ELj256EEEvPT_S5_T3_ ; -- Begin function _Z16operation_kernelIiLj256ELj2EL23memory_operation_method3E9operationIL16kernel_operation4EiLj2ELj256EEEvPT_S5_T3_
	.globl	_Z16operation_kernelIiLj256ELj2EL23memory_operation_method3E9operationIL16kernel_operation4EiLj2ELj256EEEvPT_S5_T3_
	.p2align	8
	.type	_Z16operation_kernelIiLj256ELj2EL23memory_operation_method3E9operationIL16kernel_operation4EiLj2ELj256EEEvPT_S5_T3_,@function
_Z16operation_kernelIiLj256ELj2EL23memory_operation_method3E9operationIL16kernel_operation4EiLj2ELj256EEEvPT_S5_T3_: ; @_Z16operation_kernelIiLj256ELj2EL23memory_operation_method3E9operationIL16kernel_operation4EiLj2ELj256EEEvPT_S5_T3_
; %bb.0:
	s_load_dwordx4 s[0:3], s[4:5], 0x0
	s_lshl_b32 s4, s6, 9
	s_mov_b32 s5, 0
	s_lshl_b64 s[4:5], s[4:5], 2
	v_lshlrev_b32_e32 v2, 2, v0
	s_waitcnt lgkmcnt(0)
	s_add_u32 s0, s0, s4
	s_addc_u32 s1, s1, s5
	global_load_dword v1, v2, s[0:1]
	global_load_dword v3, v2, s[0:1] offset:1024
	v_lshrrev_b32_e32 v5, 5, v0
	v_or_b32_e32 v6, 0x100, v0
	v_mov_b32_e32 v4, 0x29a
	v_lshlrev_b32_e32 v7, 3, v0
	v_add_lshl_u32 v5, v5, v0, 2
	v_lshrrev_b32_e32 v6, 5, v6
	v_add_lshl_u32 v6, v6, v0, 2
	s_add_u32 s0, s2, s4
	s_addc_u32 s1, s3, s5
	s_waitcnt vmcnt(1)
	ds_write_b32 v5, v1
	s_waitcnt vmcnt(0)
	ds_write_b32 v6, v3 offset:1024
	s_waitcnt lgkmcnt(0)
	s_barrier
	global_atomic_add v7, v4, s[2:3]
	global_atomic_add v7, v4, s[2:3] offset:4
	v_lshlrev_b32_e32 v1, 1, v0
	v_lshrrev_b32_e32 v0, 4, v0
	v_add_lshl_u32 v3, v0, v1, 2
	ds_read2_b32 v[0:1], v3 offset1:1
	s_waitcnt lgkmcnt(0)
	s_barrier
	ds_write2_b32 v3, v0, v1 offset1:1
	s_waitcnt lgkmcnt(0)
	s_barrier
	ds_read_b32 v0, v5
	ds_read_b32 v1, v6 offset:1024
	s_waitcnt lgkmcnt(1)
	global_store_dword v2, v0, s[0:1]
	s_waitcnt lgkmcnt(0)
	global_store_dword v2, v1, s[0:1] offset:1024
	s_endpgm
	.section	.rodata,"a",@progbits
	.p2align	6, 0x0
	.amdhsa_kernel _Z16operation_kernelIiLj256ELj2EL23memory_operation_method3E9operationIL16kernel_operation4EiLj2ELj256EEEvPT_S5_T3_
		.amdhsa_group_segment_fixed_size 2112
		.amdhsa_private_segment_fixed_size 0
		.amdhsa_kernarg_size 20
		.amdhsa_user_sgpr_count 6
		.amdhsa_user_sgpr_private_segment_buffer 1
		.amdhsa_user_sgpr_dispatch_ptr 0
		.amdhsa_user_sgpr_queue_ptr 0
		.amdhsa_user_sgpr_kernarg_segment_ptr 1
		.amdhsa_user_sgpr_dispatch_id 0
		.amdhsa_user_sgpr_flat_scratch_init 0
		.amdhsa_user_sgpr_kernarg_preload_length 0
		.amdhsa_user_sgpr_kernarg_preload_offset 0
		.amdhsa_user_sgpr_private_segment_size 0
		.amdhsa_uses_dynamic_stack 0
		.amdhsa_system_sgpr_private_segment_wavefront_offset 0
		.amdhsa_system_sgpr_workgroup_id_x 1
		.amdhsa_system_sgpr_workgroup_id_y 0
		.amdhsa_system_sgpr_workgroup_id_z 0
		.amdhsa_system_sgpr_workgroup_info 0
		.amdhsa_system_vgpr_workitem_id 0
		.amdhsa_next_free_vgpr 8
		.amdhsa_next_free_sgpr 7
		.amdhsa_accum_offset 8
		.amdhsa_reserve_vcc 0
		.amdhsa_reserve_flat_scratch 0
		.amdhsa_float_round_mode_32 0
		.amdhsa_float_round_mode_16_64 0
		.amdhsa_float_denorm_mode_32 3
		.amdhsa_float_denorm_mode_16_64 3
		.amdhsa_dx10_clamp 1
		.amdhsa_ieee_mode 1
		.amdhsa_fp16_overflow 0
		.amdhsa_tg_split 0
		.amdhsa_exception_fp_ieee_invalid_op 0
		.amdhsa_exception_fp_denorm_src 0
		.amdhsa_exception_fp_ieee_div_zero 0
		.amdhsa_exception_fp_ieee_overflow 0
		.amdhsa_exception_fp_ieee_underflow 0
		.amdhsa_exception_fp_ieee_inexact 0
		.amdhsa_exception_int_div_zero 0
	.end_amdhsa_kernel
	.section	.text._Z16operation_kernelIiLj256ELj2EL23memory_operation_method3E9operationIL16kernel_operation4EiLj2ELj256EEEvPT_S5_T3_,"axG",@progbits,_Z16operation_kernelIiLj256ELj2EL23memory_operation_method3E9operationIL16kernel_operation4EiLj2ELj256EEEvPT_S5_T3_,comdat
.Lfunc_end93:
	.size	_Z16operation_kernelIiLj256ELj2EL23memory_operation_method3E9operationIL16kernel_operation4EiLj2ELj256EEEvPT_S5_T3_, .Lfunc_end93-_Z16operation_kernelIiLj256ELj2EL23memory_operation_method3E9operationIL16kernel_operation4EiLj2ELj256EEEvPT_S5_T3_
                                        ; -- End function
	.section	.AMDGPU.csdata,"",@progbits
; Kernel info:
; codeLenInByte = 244
; NumSgprs: 11
; NumVgprs: 8
; NumAgprs: 0
; TotalNumVgprs: 8
; ScratchSize: 0
; MemoryBound: 0
; FloatMode: 240
; IeeeMode: 1
; LDSByteSize: 2112 bytes/workgroup (compile time only)
; SGPRBlocks: 1
; VGPRBlocks: 0
; NumSGPRsForWavesPerEU: 11
; NumVGPRsForWavesPerEU: 8
; AccumOffset: 8
; Occupancy: 8
; WaveLimiterHint : 1
; COMPUTE_PGM_RSRC2:SCRATCH_EN: 0
; COMPUTE_PGM_RSRC2:USER_SGPR: 6
; COMPUTE_PGM_RSRC2:TRAP_HANDLER: 0
; COMPUTE_PGM_RSRC2:TGID_X_EN: 1
; COMPUTE_PGM_RSRC2:TGID_Y_EN: 0
; COMPUTE_PGM_RSRC2:TGID_Z_EN: 0
; COMPUTE_PGM_RSRC2:TIDIG_COMP_CNT: 0
; COMPUTE_PGM_RSRC3_GFX90A:ACCUM_OFFSET: 1
; COMPUTE_PGM_RSRC3_GFX90A:TG_SPLIT: 0
	.section	.text._Z16operation_kernelIiLj256ELj4EL23memory_operation_method3E9operationIL16kernel_operation4EiLj4ELj256EEEvPT_S5_T3_,"axG",@progbits,_Z16operation_kernelIiLj256ELj4EL23memory_operation_method3E9operationIL16kernel_operation4EiLj4ELj256EEEvPT_S5_T3_,comdat
	.protected	_Z16operation_kernelIiLj256ELj4EL23memory_operation_method3E9operationIL16kernel_operation4EiLj4ELj256EEEvPT_S5_T3_ ; -- Begin function _Z16operation_kernelIiLj256ELj4EL23memory_operation_method3E9operationIL16kernel_operation4EiLj4ELj256EEEvPT_S5_T3_
	.globl	_Z16operation_kernelIiLj256ELj4EL23memory_operation_method3E9operationIL16kernel_operation4EiLj4ELj256EEEvPT_S5_T3_
	.p2align	8
	.type	_Z16operation_kernelIiLj256ELj4EL23memory_operation_method3E9operationIL16kernel_operation4EiLj4ELj256EEEvPT_S5_T3_,@function
_Z16operation_kernelIiLj256ELj4EL23memory_operation_method3E9operationIL16kernel_operation4EiLj4ELj256EEEvPT_S5_T3_: ; @_Z16operation_kernelIiLj256ELj4EL23memory_operation_method3E9operationIL16kernel_operation4EiLj4ELj256EEEvPT_S5_T3_
; %bb.0:
	s_load_dwordx4 s[0:3], s[4:5], 0x0
	s_lshl_b32 s4, s6, 10
	s_mov_b32 s5, 0
	s_lshl_b64 s[4:5], s[4:5], 2
	v_lshlrev_b32_e32 v4, 2, v0
	s_waitcnt lgkmcnt(0)
	s_add_u32 s0, s0, s4
	s_addc_u32 s1, s1, s5
	global_load_dword v1, v4, s[0:1]
	global_load_dword v2, v4, s[0:1] offset:1024
	global_load_dword v3, v4, s[0:1] offset:2048
	;; [unrolled: 1-line block ×3, first 2 shown]
	v_lshrrev_b32_e32 v7, 5, v0
	v_or_b32_e32 v8, 0x100, v0
	v_or_b32_e32 v9, 0x200, v0
	v_or_b32_e32 v10, 0x300, v0
	v_lshrrev_b32_e32 v11, 3, v0
	v_mov_b32_e32 v6, 0x29a
	v_lshlrev_b32_e32 v12, 4, v0
	v_add_lshl_u32 v7, v7, v0, 2
	v_lshrrev_b32_e32 v8, 5, v8
	v_lshrrev_b32_e32 v9, 5, v9
	;; [unrolled: 1-line block ×3, first 2 shown]
	v_add_lshl_u32 v11, v11, v4, 2
	v_add_lshl_u32 v8, v8, v0, 2
	;; [unrolled: 1-line block ×4, first 2 shown]
	s_add_u32 s0, s2, s4
	s_addc_u32 s1, s3, s5
	s_waitcnt vmcnt(3)
	ds_write_b32 v7, v1
	s_waitcnt vmcnt(2)
	ds_write_b32 v8, v2 offset:1024
	s_waitcnt vmcnt(1)
	ds_write_b32 v9, v3 offset:2048
	;; [unrolled: 2-line block ×3, first 2 shown]
	s_waitcnt lgkmcnt(0)
	s_barrier
	ds_read2_b32 v[0:1], v11 offset1:1
	ds_read2_b32 v[2:3], v11 offset0:2 offset1:3
	global_atomic_add v12, v6, s[2:3]
	global_atomic_add v12, v6, s[2:3] offset:4
	global_atomic_add v12, v6, s[2:3] offset:8
	;; [unrolled: 1-line block ×3, first 2 shown]
	s_waitcnt lgkmcnt(0)
	s_barrier
	ds_write2_b32 v11, v0, v1 offset1:1
	ds_write2_b32 v11, v2, v3 offset0:2 offset1:3
	s_waitcnt lgkmcnt(0)
	s_barrier
	ds_read_b32 v0, v7
	ds_read_b32 v1, v8 offset:1024
	ds_read_b32 v2, v9 offset:2048
	;; [unrolled: 1-line block ×3, first 2 shown]
	s_waitcnt lgkmcnt(3)
	global_store_dword v4, v0, s[0:1]
	s_waitcnt lgkmcnt(2)
	global_store_dword v4, v1, s[0:1] offset:1024
	s_waitcnt lgkmcnt(1)
	global_store_dword v4, v2, s[0:1] offset:2048
	;; [unrolled: 2-line block ×3, first 2 shown]
	s_endpgm
	.section	.rodata,"a",@progbits
	.p2align	6, 0x0
	.amdhsa_kernel _Z16operation_kernelIiLj256ELj4EL23memory_operation_method3E9operationIL16kernel_operation4EiLj4ELj256EEEvPT_S5_T3_
		.amdhsa_group_segment_fixed_size 4224
		.amdhsa_private_segment_fixed_size 0
		.amdhsa_kernarg_size 20
		.amdhsa_user_sgpr_count 6
		.amdhsa_user_sgpr_private_segment_buffer 1
		.amdhsa_user_sgpr_dispatch_ptr 0
		.amdhsa_user_sgpr_queue_ptr 0
		.amdhsa_user_sgpr_kernarg_segment_ptr 1
		.amdhsa_user_sgpr_dispatch_id 0
		.amdhsa_user_sgpr_flat_scratch_init 0
		.amdhsa_user_sgpr_kernarg_preload_length 0
		.amdhsa_user_sgpr_kernarg_preload_offset 0
		.amdhsa_user_sgpr_private_segment_size 0
		.amdhsa_uses_dynamic_stack 0
		.amdhsa_system_sgpr_private_segment_wavefront_offset 0
		.amdhsa_system_sgpr_workgroup_id_x 1
		.amdhsa_system_sgpr_workgroup_id_y 0
		.amdhsa_system_sgpr_workgroup_id_z 0
		.amdhsa_system_sgpr_workgroup_info 0
		.amdhsa_system_vgpr_workitem_id 0
		.amdhsa_next_free_vgpr 13
		.amdhsa_next_free_sgpr 7
		.amdhsa_accum_offset 16
		.amdhsa_reserve_vcc 0
		.amdhsa_reserve_flat_scratch 0
		.amdhsa_float_round_mode_32 0
		.amdhsa_float_round_mode_16_64 0
		.amdhsa_float_denorm_mode_32 3
		.amdhsa_float_denorm_mode_16_64 3
		.amdhsa_dx10_clamp 1
		.amdhsa_ieee_mode 1
		.amdhsa_fp16_overflow 0
		.amdhsa_tg_split 0
		.amdhsa_exception_fp_ieee_invalid_op 0
		.amdhsa_exception_fp_denorm_src 0
		.amdhsa_exception_fp_ieee_div_zero 0
		.amdhsa_exception_fp_ieee_overflow 0
		.amdhsa_exception_fp_ieee_underflow 0
		.amdhsa_exception_fp_ieee_inexact 0
		.amdhsa_exception_int_div_zero 0
	.end_amdhsa_kernel
	.section	.text._Z16operation_kernelIiLj256ELj4EL23memory_operation_method3E9operationIL16kernel_operation4EiLj4ELj256EEEvPT_S5_T3_,"axG",@progbits,_Z16operation_kernelIiLj256ELj4EL23memory_operation_method3E9operationIL16kernel_operation4EiLj4ELj256EEEvPT_S5_T3_,comdat
.Lfunc_end94:
	.size	_Z16operation_kernelIiLj256ELj4EL23memory_operation_method3E9operationIL16kernel_operation4EiLj4ELj256EEEvPT_S5_T3_, .Lfunc_end94-_Z16operation_kernelIiLj256ELj4EL23memory_operation_method3E9operationIL16kernel_operation4EiLj4ELj256EEEvPT_S5_T3_
                                        ; -- End function
	.section	.AMDGPU.csdata,"",@progbits
; Kernel info:
; codeLenInByte = 392
; NumSgprs: 11
; NumVgprs: 13
; NumAgprs: 0
; TotalNumVgprs: 13
; ScratchSize: 0
; MemoryBound: 0
; FloatMode: 240
; IeeeMode: 1
; LDSByteSize: 4224 bytes/workgroup (compile time only)
; SGPRBlocks: 1
; VGPRBlocks: 1
; NumSGPRsForWavesPerEU: 11
; NumVGPRsForWavesPerEU: 13
; AccumOffset: 16
; Occupancy: 8
; WaveLimiterHint : 1
; COMPUTE_PGM_RSRC2:SCRATCH_EN: 0
; COMPUTE_PGM_RSRC2:USER_SGPR: 6
; COMPUTE_PGM_RSRC2:TRAP_HANDLER: 0
; COMPUTE_PGM_RSRC2:TGID_X_EN: 1
; COMPUTE_PGM_RSRC2:TGID_Y_EN: 0
; COMPUTE_PGM_RSRC2:TGID_Z_EN: 0
; COMPUTE_PGM_RSRC2:TIDIG_COMP_CNT: 0
; COMPUTE_PGM_RSRC3_GFX90A:ACCUM_OFFSET: 3
; COMPUTE_PGM_RSRC3_GFX90A:TG_SPLIT: 0
	.section	.text._Z16operation_kernelIiLj256ELj8EL23memory_operation_method3E9operationIL16kernel_operation4EiLj8ELj256EEEvPT_S5_T3_,"axG",@progbits,_Z16operation_kernelIiLj256ELj8EL23memory_operation_method3E9operationIL16kernel_operation4EiLj8ELj256EEEvPT_S5_T3_,comdat
	.protected	_Z16operation_kernelIiLj256ELj8EL23memory_operation_method3E9operationIL16kernel_operation4EiLj8ELj256EEEvPT_S5_T3_ ; -- Begin function _Z16operation_kernelIiLj256ELj8EL23memory_operation_method3E9operationIL16kernel_operation4EiLj8ELj256EEEvPT_S5_T3_
	.globl	_Z16operation_kernelIiLj256ELj8EL23memory_operation_method3E9operationIL16kernel_operation4EiLj8ELj256EEEvPT_S5_T3_
	.p2align	8
	.type	_Z16operation_kernelIiLj256ELj8EL23memory_operation_method3E9operationIL16kernel_operation4EiLj8ELj256EEEvPT_S5_T3_,@function
_Z16operation_kernelIiLj256ELj8EL23memory_operation_method3E9operationIL16kernel_operation4EiLj8ELj256EEEvPT_S5_T3_: ; @_Z16operation_kernelIiLj256ELj8EL23memory_operation_method3E9operationIL16kernel_operation4EiLj8ELj256EEEvPT_S5_T3_
; %bb.0:
	s_load_dwordx4 s[0:3], s[4:5], 0x0
	s_lshl_b32 s4, s6, 11
	s_mov_b32 s5, 0
	s_lshl_b64 s[4:5], s[4:5], 2
	v_lshlrev_b32_e32 v8, 2, v0
	s_waitcnt lgkmcnt(0)
	s_add_u32 s0, s0, s4
	s_addc_u32 s1, s1, s5
	v_mov_b32_e32 v1, s1
	v_add_co_u32_e32 v2, vcc, s0, v8
	v_addc_co_u32_e32 v1, vcc, 0, v1, vcc
	s_movk_i32 s6, 0x1000
	v_add_co_u32_e32 v2, vcc, s6, v2
	v_addc_co_u32_e32 v3, vcc, 0, v1, vcc
	global_load_dword v1, v8, s[0:1]
	global_load_dword v4, v8, s[0:1] offset:1024
	global_load_dword v5, v8, s[0:1] offset:2048
	;; [unrolled: 1-line block ×3, first 2 shown]
	global_load_dword v7, v[2:3], off
	global_load_dword v9, v[2:3], off offset:1024
	global_load_dword v10, v[2:3], off offset:2048
	;; [unrolled: 1-line block ×3, first 2 shown]
	v_lshrrev_b32_e32 v2, 5, v0
	v_or_b32_e32 v3, 0x100, v0
	v_or_b32_e32 v13, 0x200, v0
	;; [unrolled: 1-line block ×7, first 2 shown]
	v_lshlrev_b32_e32 v19, 3, v0
	v_lshrrev_b32_e32 v20, 2, v0
	v_mov_b32_e32 v12, 0x29a
	v_lshlrev_b32_e32 v21, 5, v0
	v_add_lshl_u32 v22, v2, v0, 2
	v_lshrrev_b32_e32 v2, 5, v3
	v_lshrrev_b32_e32 v3, 5, v13
	;; [unrolled: 1-line block ×7, first 2 shown]
	v_add_lshl_u32 v18, v20, v19, 2
	v_add_lshl_u32 v19, v2, v0, 2
	;; [unrolled: 1-line block ×8, first 2 shown]
	s_add_u32 s0, s2, s4
	s_addc_u32 s1, s3, s5
	s_waitcnt vmcnt(7)
	ds_write_b32 v22, v1
	s_waitcnt vmcnt(6)
	ds_write_b32 v19, v4 offset:1024
	s_waitcnt vmcnt(5)
	ds_write_b32 v20, v5 offset:2048
	;; [unrolled: 2-line block ×7, first 2 shown]
	s_waitcnt lgkmcnt(0)
	s_barrier
	ds_read2_b32 v[0:1], v18 offset1:1
	ds_read2_b32 v[2:3], v18 offset0:2 offset1:3
	ds_read2_b32 v[4:5], v18 offset0:4 offset1:5
	;; [unrolled: 1-line block ×3, first 2 shown]
	global_atomic_add v21, v12, s[2:3]
	global_atomic_add v21, v12, s[2:3] offset:4
	global_atomic_add v21, v12, s[2:3] offset:8
	;; [unrolled: 1-line block ×7, first 2 shown]
	s_waitcnt lgkmcnt(0)
	s_barrier
	ds_write2_b32 v18, v0, v1 offset1:1
	ds_write2_b32 v18, v2, v3 offset0:2 offset1:3
	ds_write2_b32 v18, v4, v5 offset0:4 offset1:5
	;; [unrolled: 1-line block ×3, first 2 shown]
	s_waitcnt lgkmcnt(0)
	s_barrier
	ds_read_b32 v0, v22
	ds_read_b32 v1, v19 offset:1024
	ds_read_b32 v2, v20 offset:2048
	;; [unrolled: 1-line block ×7, first 2 shown]
	v_mov_b32_e32 v9, s1
	v_add_co_u32_e32 v10, vcc, s0, v8
	v_addc_co_u32_e32 v9, vcc, 0, v9, vcc
	s_waitcnt lgkmcnt(7)
	global_store_dword v8, v0, s[0:1]
	s_waitcnt lgkmcnt(6)
	global_store_dword v8, v1, s[0:1] offset:1024
	s_waitcnt lgkmcnt(5)
	global_store_dword v8, v2, s[0:1] offset:2048
	;; [unrolled: 2-line block ×3, first 2 shown]
	v_add_co_u32_e32 v0, vcc, 0x1000, v10
	v_addc_co_u32_e32 v1, vcc, 0, v9, vcc
	s_waitcnt lgkmcnt(3)
	global_store_dword v[0:1], v4, off
	s_waitcnt lgkmcnt(2)
	global_store_dword v[0:1], v5, off offset:1024
	s_waitcnt lgkmcnt(1)
	global_store_dword v[0:1], v6, off offset:2048
	;; [unrolled: 2-line block ×3, first 2 shown]
	s_endpgm
	.section	.rodata,"a",@progbits
	.p2align	6, 0x0
	.amdhsa_kernel _Z16operation_kernelIiLj256ELj8EL23memory_operation_method3E9operationIL16kernel_operation4EiLj8ELj256EEEvPT_S5_T3_
		.amdhsa_group_segment_fixed_size 8448
		.amdhsa_private_segment_fixed_size 0
		.amdhsa_kernarg_size 20
		.amdhsa_user_sgpr_count 6
		.amdhsa_user_sgpr_private_segment_buffer 1
		.amdhsa_user_sgpr_dispatch_ptr 0
		.amdhsa_user_sgpr_queue_ptr 0
		.amdhsa_user_sgpr_kernarg_segment_ptr 1
		.amdhsa_user_sgpr_dispatch_id 0
		.amdhsa_user_sgpr_flat_scratch_init 0
		.amdhsa_user_sgpr_kernarg_preload_length 0
		.amdhsa_user_sgpr_kernarg_preload_offset 0
		.amdhsa_user_sgpr_private_segment_size 0
		.amdhsa_uses_dynamic_stack 0
		.amdhsa_system_sgpr_private_segment_wavefront_offset 0
		.amdhsa_system_sgpr_workgroup_id_x 1
		.amdhsa_system_sgpr_workgroup_id_y 0
		.amdhsa_system_sgpr_workgroup_id_z 0
		.amdhsa_system_sgpr_workgroup_info 0
		.amdhsa_system_vgpr_workitem_id 0
		.amdhsa_next_free_vgpr 23
		.amdhsa_next_free_sgpr 7
		.amdhsa_accum_offset 24
		.amdhsa_reserve_vcc 1
		.amdhsa_reserve_flat_scratch 0
		.amdhsa_float_round_mode_32 0
		.amdhsa_float_round_mode_16_64 0
		.amdhsa_float_denorm_mode_32 3
		.amdhsa_float_denorm_mode_16_64 3
		.amdhsa_dx10_clamp 1
		.amdhsa_ieee_mode 1
		.amdhsa_fp16_overflow 0
		.amdhsa_tg_split 0
		.amdhsa_exception_fp_ieee_invalid_op 0
		.amdhsa_exception_fp_denorm_src 0
		.amdhsa_exception_fp_ieee_div_zero 0
		.amdhsa_exception_fp_ieee_overflow 0
		.amdhsa_exception_fp_ieee_underflow 0
		.amdhsa_exception_fp_ieee_inexact 0
		.amdhsa_exception_int_div_zero 0
	.end_amdhsa_kernel
	.section	.text._Z16operation_kernelIiLj256ELj8EL23memory_operation_method3E9operationIL16kernel_operation4EiLj8ELj256EEEvPT_S5_T3_,"axG",@progbits,_Z16operation_kernelIiLj256ELj8EL23memory_operation_method3E9operationIL16kernel_operation4EiLj8ELj256EEEvPT_S5_T3_,comdat
.Lfunc_end95:
	.size	_Z16operation_kernelIiLj256ELj8EL23memory_operation_method3E9operationIL16kernel_operation4EiLj8ELj256EEEvPT_S5_T3_, .Lfunc_end95-_Z16operation_kernelIiLj256ELj8EL23memory_operation_method3E9operationIL16kernel_operation4EiLj8ELj256EEEvPT_S5_T3_
                                        ; -- End function
	.section	.AMDGPU.csdata,"",@progbits
; Kernel info:
; codeLenInByte = 748
; NumSgprs: 11
; NumVgprs: 23
; NumAgprs: 0
; TotalNumVgprs: 23
; ScratchSize: 0
; MemoryBound: 0
; FloatMode: 240
; IeeeMode: 1
; LDSByteSize: 8448 bytes/workgroup (compile time only)
; SGPRBlocks: 1
; VGPRBlocks: 2
; NumSGPRsForWavesPerEU: 11
; NumVGPRsForWavesPerEU: 23
; AccumOffset: 24
; Occupancy: 7
; WaveLimiterHint : 1
; COMPUTE_PGM_RSRC2:SCRATCH_EN: 0
; COMPUTE_PGM_RSRC2:USER_SGPR: 6
; COMPUTE_PGM_RSRC2:TRAP_HANDLER: 0
; COMPUTE_PGM_RSRC2:TGID_X_EN: 1
; COMPUTE_PGM_RSRC2:TGID_Y_EN: 0
; COMPUTE_PGM_RSRC2:TGID_Z_EN: 0
; COMPUTE_PGM_RSRC2:TIDIG_COMP_CNT: 0
; COMPUTE_PGM_RSRC3_GFX90A:ACCUM_OFFSET: 5
; COMPUTE_PGM_RSRC3_GFX90A:TG_SPLIT: 0
	.section	.text._Z16operation_kernelIiLj256ELj1EL23memory_operation_method4E9operationIL16kernel_operation4EiLj1ELj256EEEvPT_S5_T3_,"axG",@progbits,_Z16operation_kernelIiLj256ELj1EL23memory_operation_method4E9operationIL16kernel_operation4EiLj1ELj256EEEvPT_S5_T3_,comdat
	.protected	_Z16operation_kernelIiLj256ELj1EL23memory_operation_method4E9operationIL16kernel_operation4EiLj1ELj256EEEvPT_S5_T3_ ; -- Begin function _Z16operation_kernelIiLj256ELj1EL23memory_operation_method4E9operationIL16kernel_operation4EiLj1ELj256EEEvPT_S5_T3_
	.globl	_Z16operation_kernelIiLj256ELj1EL23memory_operation_method4E9operationIL16kernel_operation4EiLj1ELj256EEEvPT_S5_T3_
	.p2align	8
	.type	_Z16operation_kernelIiLj256ELj1EL23memory_operation_method4E9operationIL16kernel_operation4EiLj1ELj256EEEvPT_S5_T3_,@function
_Z16operation_kernelIiLj256ELj1EL23memory_operation_method4E9operationIL16kernel_operation4EiLj1ELj256EEEvPT_S5_T3_: ; @_Z16operation_kernelIiLj256ELj1EL23memory_operation_method4E9operationIL16kernel_operation4EiLj1ELj256EEEvPT_S5_T3_
; %bb.0:
	s_load_dwordx4 s[0:3], s[4:5], 0x0
	s_lshl_b32 s4, s6, 8
	s_mov_b32 s5, 0
	s_lshl_b64 s[4:5], s[4:5], 2
	v_mbcnt_lo_u32_b32 v1, -1, 0
	s_waitcnt lgkmcnt(0)
	s_add_u32 s0, s0, s4
	v_mbcnt_hi_u32_b32 v1, -1, v1
	s_addc_u32 s1, s1, s5
	v_lshlrev_b32_e32 v5, 2, v1
	v_and_b32_e32 v4, 0xc0, v0
	v_mov_b32_e32 v2, s1
	v_add_co_u32_e32 v3, vcc, s0, v5
	v_addc_co_u32_e32 v6, vcc, 0, v2, vcc
	v_lshlrev_b32_e32 v7, 2, v4
	v_add_co_u32_e32 v2, vcc, v3, v7
	v_addc_co_u32_e32 v3, vcc, 0, v6, vcc
	global_load_dword v2, v[2:3], off
	v_mov_b32_e32 v3, 0x29a
	v_lshlrev_b32_e32 v0, 2, v0
	v_add_lshl_u32 v1, v1, v4, 2
	s_add_u32 s0, s2, s4
	s_addc_u32 s1, s3, s5
	s_waitcnt vmcnt(0)
	ds_write_b32 v1, v2
	; wave barrier
	ds_read_b32 v2, v1
	global_atomic_add v0, v3, s[2:3]
	s_waitcnt lgkmcnt(0)
	s_barrier
	ds_write_b32 v1, v2
	; wave barrier
	ds_read_b32 v2, v1
	v_mov_b32_e32 v0, s1
	v_add_co_u32_e32 v1, vcc, s0, v5
	v_addc_co_u32_e32 v3, vcc, 0, v0, vcc
	v_add_co_u32_e32 v0, vcc, v1, v7
	v_addc_co_u32_e32 v1, vcc, 0, v3, vcc
	s_waitcnt lgkmcnt(0)
	global_store_dword v[0:1], v2, off
	s_endpgm
	.section	.rodata,"a",@progbits
	.p2align	6, 0x0
	.amdhsa_kernel _Z16operation_kernelIiLj256ELj1EL23memory_operation_method4E9operationIL16kernel_operation4EiLj1ELj256EEEvPT_S5_T3_
		.amdhsa_group_segment_fixed_size 1024
		.amdhsa_private_segment_fixed_size 0
		.amdhsa_kernarg_size 20
		.amdhsa_user_sgpr_count 6
		.amdhsa_user_sgpr_private_segment_buffer 1
		.amdhsa_user_sgpr_dispatch_ptr 0
		.amdhsa_user_sgpr_queue_ptr 0
		.amdhsa_user_sgpr_kernarg_segment_ptr 1
		.amdhsa_user_sgpr_dispatch_id 0
		.amdhsa_user_sgpr_flat_scratch_init 0
		.amdhsa_user_sgpr_kernarg_preload_length 0
		.amdhsa_user_sgpr_kernarg_preload_offset 0
		.amdhsa_user_sgpr_private_segment_size 0
		.amdhsa_uses_dynamic_stack 0
		.amdhsa_system_sgpr_private_segment_wavefront_offset 0
		.amdhsa_system_sgpr_workgroup_id_x 1
		.amdhsa_system_sgpr_workgroup_id_y 0
		.amdhsa_system_sgpr_workgroup_id_z 0
		.amdhsa_system_sgpr_workgroup_info 0
		.amdhsa_system_vgpr_workitem_id 0
		.amdhsa_next_free_vgpr 8
		.amdhsa_next_free_sgpr 7
		.amdhsa_accum_offset 8
		.amdhsa_reserve_vcc 1
		.amdhsa_reserve_flat_scratch 0
		.amdhsa_float_round_mode_32 0
		.amdhsa_float_round_mode_16_64 0
		.amdhsa_float_denorm_mode_32 3
		.amdhsa_float_denorm_mode_16_64 3
		.amdhsa_dx10_clamp 1
		.amdhsa_ieee_mode 1
		.amdhsa_fp16_overflow 0
		.amdhsa_tg_split 0
		.amdhsa_exception_fp_ieee_invalid_op 0
		.amdhsa_exception_fp_denorm_src 0
		.amdhsa_exception_fp_ieee_div_zero 0
		.amdhsa_exception_fp_ieee_overflow 0
		.amdhsa_exception_fp_ieee_underflow 0
		.amdhsa_exception_fp_ieee_inexact 0
		.amdhsa_exception_int_div_zero 0
	.end_amdhsa_kernel
	.section	.text._Z16operation_kernelIiLj256ELj1EL23memory_operation_method4E9operationIL16kernel_operation4EiLj1ELj256EEEvPT_S5_T3_,"axG",@progbits,_Z16operation_kernelIiLj256ELj1EL23memory_operation_method4E9operationIL16kernel_operation4EiLj1ELj256EEEvPT_S5_T3_,comdat
.Lfunc_end96:
	.size	_Z16operation_kernelIiLj256ELj1EL23memory_operation_method4E9operationIL16kernel_operation4EiLj1ELj256EEEvPT_S5_T3_, .Lfunc_end96-_Z16operation_kernelIiLj256ELj1EL23memory_operation_method4E9operationIL16kernel_operation4EiLj1ELj256EEEvPT_S5_T3_
                                        ; -- End function
	.section	.AMDGPU.csdata,"",@progbits
; Kernel info:
; codeLenInByte = 208
; NumSgprs: 11
; NumVgprs: 8
; NumAgprs: 0
; TotalNumVgprs: 8
; ScratchSize: 0
; MemoryBound: 0
; FloatMode: 240
; IeeeMode: 1
; LDSByteSize: 1024 bytes/workgroup (compile time only)
; SGPRBlocks: 1
; VGPRBlocks: 0
; NumSGPRsForWavesPerEU: 11
; NumVGPRsForWavesPerEU: 8
; AccumOffset: 8
; Occupancy: 8
; WaveLimiterHint : 0
; COMPUTE_PGM_RSRC2:SCRATCH_EN: 0
; COMPUTE_PGM_RSRC2:USER_SGPR: 6
; COMPUTE_PGM_RSRC2:TRAP_HANDLER: 0
; COMPUTE_PGM_RSRC2:TGID_X_EN: 1
; COMPUTE_PGM_RSRC2:TGID_Y_EN: 0
; COMPUTE_PGM_RSRC2:TGID_Z_EN: 0
; COMPUTE_PGM_RSRC2:TIDIG_COMP_CNT: 0
; COMPUTE_PGM_RSRC3_GFX90A:ACCUM_OFFSET: 1
; COMPUTE_PGM_RSRC3_GFX90A:TG_SPLIT: 0
	.section	.text._Z16operation_kernelIiLj256ELj2EL23memory_operation_method4E9operationIL16kernel_operation4EiLj2ELj256EEEvPT_S5_T3_,"axG",@progbits,_Z16operation_kernelIiLj256ELj2EL23memory_operation_method4E9operationIL16kernel_operation4EiLj2ELj256EEEvPT_S5_T3_,comdat
	.protected	_Z16operation_kernelIiLj256ELj2EL23memory_operation_method4E9operationIL16kernel_operation4EiLj2ELj256EEEvPT_S5_T3_ ; -- Begin function _Z16operation_kernelIiLj256ELj2EL23memory_operation_method4E9operationIL16kernel_operation4EiLj2ELj256EEEvPT_S5_T3_
	.globl	_Z16operation_kernelIiLj256ELj2EL23memory_operation_method4E9operationIL16kernel_operation4EiLj2ELj256EEEvPT_S5_T3_
	.p2align	8
	.type	_Z16operation_kernelIiLj256ELj2EL23memory_operation_method4E9operationIL16kernel_operation4EiLj2ELj256EEEvPT_S5_T3_,@function
_Z16operation_kernelIiLj256ELj2EL23memory_operation_method4E9operationIL16kernel_operation4EiLj2ELj256EEEvPT_S5_T3_: ; @_Z16operation_kernelIiLj256ELj2EL23memory_operation_method4E9operationIL16kernel_operation4EiLj2ELj256EEEvPT_S5_T3_
; %bb.0:
	s_load_dwordx4 s[0:3], s[4:5], 0x0
	s_lshl_b32 s4, s6, 9
	s_mov_b32 s5, 0
	s_lshl_b64 s[4:5], s[4:5], 2
	v_mbcnt_lo_u32_b32 v1, -1, 0
	s_waitcnt lgkmcnt(0)
	s_add_u32 s0, s0, s4
	v_mbcnt_hi_u32_b32 v1, -1, v1
	s_addc_u32 s1, s1, s5
	v_lshlrev_b32_e32 v2, 1, v0
	v_lshlrev_b32_e32 v5, 2, v1
	v_and_b32_e32 v4, 0x180, v2
	v_mov_b32_e32 v2, s1
	v_add_co_u32_e32 v3, vcc, s0, v5
	v_addc_co_u32_e32 v6, vcc, 0, v2, vcc
	v_lshlrev_b32_e32 v7, 2, v4
	v_add_co_u32_e32 v2, vcc, v3, v7
	v_addc_co_u32_e32 v3, vcc, 0, v6, vcc
	global_load_dword v6, v[2:3], off
	global_load_dword v8, v[2:3], off offset:256
	v_and_b32_e32 v3, 0xc0, v0
	v_lshlrev_b32_e32 v9, 3, v0
	v_add_u32_e32 v0, v1, v3
	v_or_b32_e32 v1, v1, v4
	v_lshlrev_b32_e32 v3, 1, v0
	v_bfe_u32 v0, v0, 4, 27
	v_lshrrev_b32_e32 v4, 5, v1
	v_add_u32_e32 v10, 64, v1
	v_mov_b32_e32 v2, 0x29a
	v_add_lshl_u32 v3, v0, v3, 2
	v_add_lshl_u32 v4, v4, v1, 2
	v_lshrrev_b32_e32 v0, 5, v10
	v_add_lshl_u32 v10, v0, v10, 2
	s_add_u32 s0, s2, s4
	s_addc_u32 s1, s3, s5
	s_waitcnt vmcnt(1)
	ds_write_b32 v4, v6
	s_waitcnt vmcnt(0)
	ds_write_b32 v10, v8
	; wave barrier
	ds_read2_b32 v[0:1], v3 offset1:1
	global_atomic_add v9, v2, s[2:3]
	global_atomic_add v9, v2, s[2:3] offset:4
	s_waitcnt lgkmcnt(0)
	s_barrier
	ds_write2_b32 v3, v0, v1 offset1:1
	; wave barrier
	ds_read_b32 v2, v4
	ds_read_b32 v3, v10
	v_mov_b32_e32 v0, s1
	v_add_co_u32_e32 v1, vcc, s0, v5
	v_addc_co_u32_e32 v4, vcc, 0, v0, vcc
	v_add_co_u32_e32 v0, vcc, v1, v7
	v_addc_co_u32_e32 v1, vcc, 0, v4, vcc
	s_waitcnt lgkmcnt(1)
	global_store_dword v[0:1], v2, off
	s_waitcnt lgkmcnt(0)
	global_store_dword v[0:1], v3, off offset:256
	s_endpgm
	.section	.rodata,"a",@progbits
	.p2align	6, 0x0
	.amdhsa_kernel _Z16operation_kernelIiLj256ELj2EL23memory_operation_method4E9operationIL16kernel_operation4EiLj2ELj256EEEvPT_S5_T3_
		.amdhsa_group_segment_fixed_size 2112
		.amdhsa_private_segment_fixed_size 0
		.amdhsa_kernarg_size 20
		.amdhsa_user_sgpr_count 6
		.amdhsa_user_sgpr_private_segment_buffer 1
		.amdhsa_user_sgpr_dispatch_ptr 0
		.amdhsa_user_sgpr_queue_ptr 0
		.amdhsa_user_sgpr_kernarg_segment_ptr 1
		.amdhsa_user_sgpr_dispatch_id 0
		.amdhsa_user_sgpr_flat_scratch_init 0
		.amdhsa_user_sgpr_kernarg_preload_length 0
		.amdhsa_user_sgpr_kernarg_preload_offset 0
		.amdhsa_user_sgpr_private_segment_size 0
		.amdhsa_uses_dynamic_stack 0
		.amdhsa_system_sgpr_private_segment_wavefront_offset 0
		.amdhsa_system_sgpr_workgroup_id_x 1
		.amdhsa_system_sgpr_workgroup_id_y 0
		.amdhsa_system_sgpr_workgroup_id_z 0
		.amdhsa_system_sgpr_workgroup_info 0
		.amdhsa_system_vgpr_workitem_id 0
		.amdhsa_next_free_vgpr 11
		.amdhsa_next_free_sgpr 7
		.amdhsa_accum_offset 12
		.amdhsa_reserve_vcc 1
		.amdhsa_reserve_flat_scratch 0
		.amdhsa_float_round_mode_32 0
		.amdhsa_float_round_mode_16_64 0
		.amdhsa_float_denorm_mode_32 3
		.amdhsa_float_denorm_mode_16_64 3
		.amdhsa_dx10_clamp 1
		.amdhsa_ieee_mode 1
		.amdhsa_fp16_overflow 0
		.amdhsa_tg_split 0
		.amdhsa_exception_fp_ieee_invalid_op 0
		.amdhsa_exception_fp_denorm_src 0
		.amdhsa_exception_fp_ieee_div_zero 0
		.amdhsa_exception_fp_ieee_overflow 0
		.amdhsa_exception_fp_ieee_underflow 0
		.amdhsa_exception_fp_ieee_inexact 0
		.amdhsa_exception_int_div_zero 0
	.end_amdhsa_kernel
	.section	.text._Z16operation_kernelIiLj256ELj2EL23memory_operation_method4E9operationIL16kernel_operation4EiLj2ELj256EEEvPT_S5_T3_,"axG",@progbits,_Z16operation_kernelIiLj256ELj2EL23memory_operation_method4E9operationIL16kernel_operation4EiLj2ELj256EEEvPT_S5_T3_,comdat
.Lfunc_end97:
	.size	_Z16operation_kernelIiLj256ELj2EL23memory_operation_method4E9operationIL16kernel_operation4EiLj2ELj256EEEvPT_S5_T3_, .Lfunc_end97-_Z16operation_kernelIiLj256ELj2EL23memory_operation_method4E9operationIL16kernel_operation4EiLj2ELj256EEEvPT_S5_T3_
                                        ; -- End function
	.section	.AMDGPU.csdata,"",@progbits
; Kernel info:
; codeLenInByte = 316
; NumSgprs: 11
; NumVgprs: 11
; NumAgprs: 0
; TotalNumVgprs: 11
; ScratchSize: 0
; MemoryBound: 0
; FloatMode: 240
; IeeeMode: 1
; LDSByteSize: 2112 bytes/workgroup (compile time only)
; SGPRBlocks: 1
; VGPRBlocks: 1
; NumSGPRsForWavesPerEU: 11
; NumVGPRsForWavesPerEU: 11
; AccumOffset: 12
; Occupancy: 8
; WaveLimiterHint : 1
; COMPUTE_PGM_RSRC2:SCRATCH_EN: 0
; COMPUTE_PGM_RSRC2:USER_SGPR: 6
; COMPUTE_PGM_RSRC2:TRAP_HANDLER: 0
; COMPUTE_PGM_RSRC2:TGID_X_EN: 1
; COMPUTE_PGM_RSRC2:TGID_Y_EN: 0
; COMPUTE_PGM_RSRC2:TGID_Z_EN: 0
; COMPUTE_PGM_RSRC2:TIDIG_COMP_CNT: 0
; COMPUTE_PGM_RSRC3_GFX90A:ACCUM_OFFSET: 2
; COMPUTE_PGM_RSRC3_GFX90A:TG_SPLIT: 0
	.section	.text._Z16operation_kernelIiLj256ELj4EL23memory_operation_method4E9operationIL16kernel_operation4EiLj4ELj256EEEvPT_S5_T3_,"axG",@progbits,_Z16operation_kernelIiLj256ELj4EL23memory_operation_method4E9operationIL16kernel_operation4EiLj4ELj256EEEvPT_S5_T3_,comdat
	.protected	_Z16operation_kernelIiLj256ELj4EL23memory_operation_method4E9operationIL16kernel_operation4EiLj4ELj256EEEvPT_S5_T3_ ; -- Begin function _Z16operation_kernelIiLj256ELj4EL23memory_operation_method4E9operationIL16kernel_operation4EiLj4ELj256EEEvPT_S5_T3_
	.globl	_Z16operation_kernelIiLj256ELj4EL23memory_operation_method4E9operationIL16kernel_operation4EiLj4ELj256EEEvPT_S5_T3_
	.p2align	8
	.type	_Z16operation_kernelIiLj256ELj4EL23memory_operation_method4E9operationIL16kernel_operation4EiLj4ELj256EEEvPT_S5_T3_,@function
_Z16operation_kernelIiLj256ELj4EL23memory_operation_method4E9operationIL16kernel_operation4EiLj4ELj256EEEvPT_S5_T3_: ; @_Z16operation_kernelIiLj256ELj4EL23memory_operation_method4E9operationIL16kernel_operation4EiLj4ELj256EEEvPT_S5_T3_
; %bb.0:
	s_load_dwordx4 s[0:3], s[4:5], 0x0
	s_lshl_b32 s4, s6, 10
	s_mov_b32 s5, 0
	s_lshl_b64 s[4:5], s[4:5], 2
	v_mbcnt_lo_u32_b32 v1, -1, 0
	s_waitcnt lgkmcnt(0)
	s_add_u32 s0, s0, s4
	v_mbcnt_hi_u32_b32 v1, -1, v1
	s_addc_u32 s1, s1, s5
	v_lshlrev_b32_e32 v2, 2, v0
	v_lshlrev_b32_e32 v5, 2, v1
	v_and_b32_e32 v4, 0x300, v2
	v_mov_b32_e32 v2, s1
	v_add_co_u32_e32 v3, vcc, s0, v5
	v_addc_co_u32_e32 v6, vcc, 0, v2, vcc
	v_lshlrev_b32_e32 v7, 2, v4
	v_add_co_u32_e32 v2, vcc, v3, v7
	v_addc_co_u32_e32 v3, vcc, 0, v6, vcc
	global_load_dword v6, v[2:3], off
	global_load_dword v8, v[2:3], off offset:256
	global_load_dword v9, v[2:3], off offset:512
	;; [unrolled: 1-line block ×3, first 2 shown]
	v_and_b32_e32 v2, 0xc0, v0
	v_lshlrev_b32_e32 v12, 4, v0
	v_add_u32_e32 v0, v1, v2
	v_or_b32_e32 v1, v1, v4
	v_lshlrev_b32_e32 v2, 2, v0
	v_bfe_u32 v0, v0, 3, 27
	v_lshrrev_b32_e32 v3, 5, v1
	v_add_u32_e32 v4, 64, v1
	v_or_b32_e32 v13, 0x80, v1
	v_add_u32_e32 v14, 0xc0, v1
	v_mov_b32_e32 v11, 0x29a
	v_add_lshl_u32 v15, v0, v2, 2
	v_add_lshl_u32 v16, v3, v1, 2
	v_lshrrev_b32_e32 v0, 5, v4
	v_lshrrev_b32_e32 v1, 5, v13
	;; [unrolled: 1-line block ×3, first 2 shown]
	v_add_lshl_u32 v4, v0, v4, 2
	v_add_lshl_u32 v13, v1, v13, 2
	;; [unrolled: 1-line block ×3, first 2 shown]
	s_add_u32 s0, s2, s4
	s_addc_u32 s1, s3, s5
	s_waitcnt vmcnt(3)
	ds_write_b32 v16, v6
	s_waitcnt vmcnt(2)
	ds_write_b32 v4, v8
	;; [unrolled: 2-line block ×4, first 2 shown]
	; wave barrier
	ds_read2_b32 v[0:1], v15 offset1:1
	ds_read2_b32 v[2:3], v15 offset0:2 offset1:3
	global_atomic_add v12, v11, s[2:3]
	global_atomic_add v12, v11, s[2:3] offset:4
	global_atomic_add v12, v11, s[2:3] offset:8
	;; [unrolled: 1-line block ×3, first 2 shown]
	s_waitcnt lgkmcnt(0)
	s_barrier
	ds_write2_b32 v15, v0, v1 offset1:1
	ds_write2_b32 v15, v2, v3 offset0:2 offset1:3
	; wave barrier
	ds_read_b32 v2, v16
	ds_read_b32 v3, v4
	;; [unrolled: 1-line block ×4, first 2 shown]
	v_mov_b32_e32 v0, s1
	v_add_co_u32_e32 v1, vcc, s0, v5
	v_addc_co_u32_e32 v5, vcc, 0, v0, vcc
	v_add_co_u32_e32 v0, vcc, v1, v7
	v_addc_co_u32_e32 v1, vcc, 0, v5, vcc
	s_waitcnt lgkmcnt(3)
	global_store_dword v[0:1], v2, off
	s_waitcnt lgkmcnt(2)
	global_store_dword v[0:1], v3, off offset:256
	s_waitcnt lgkmcnt(1)
	global_store_dword v[0:1], v4, off offset:512
	;; [unrolled: 2-line block ×3, first 2 shown]
	s_endpgm
	.section	.rodata,"a",@progbits
	.p2align	6, 0x0
	.amdhsa_kernel _Z16operation_kernelIiLj256ELj4EL23memory_operation_method4E9operationIL16kernel_operation4EiLj4ELj256EEEvPT_S5_T3_
		.amdhsa_group_segment_fixed_size 4224
		.amdhsa_private_segment_fixed_size 0
		.amdhsa_kernarg_size 20
		.amdhsa_user_sgpr_count 6
		.amdhsa_user_sgpr_private_segment_buffer 1
		.amdhsa_user_sgpr_dispatch_ptr 0
		.amdhsa_user_sgpr_queue_ptr 0
		.amdhsa_user_sgpr_kernarg_segment_ptr 1
		.amdhsa_user_sgpr_dispatch_id 0
		.amdhsa_user_sgpr_flat_scratch_init 0
		.amdhsa_user_sgpr_kernarg_preload_length 0
		.amdhsa_user_sgpr_kernarg_preload_offset 0
		.amdhsa_user_sgpr_private_segment_size 0
		.amdhsa_uses_dynamic_stack 0
		.amdhsa_system_sgpr_private_segment_wavefront_offset 0
		.amdhsa_system_sgpr_workgroup_id_x 1
		.amdhsa_system_sgpr_workgroup_id_y 0
		.amdhsa_system_sgpr_workgroup_id_z 0
		.amdhsa_system_sgpr_workgroup_info 0
		.amdhsa_system_vgpr_workitem_id 0
		.amdhsa_next_free_vgpr 17
		.amdhsa_next_free_sgpr 7
		.amdhsa_accum_offset 20
		.amdhsa_reserve_vcc 1
		.amdhsa_reserve_flat_scratch 0
		.amdhsa_float_round_mode_32 0
		.amdhsa_float_round_mode_16_64 0
		.amdhsa_float_denorm_mode_32 3
		.amdhsa_float_denorm_mode_16_64 3
		.amdhsa_dx10_clamp 1
		.amdhsa_ieee_mode 1
		.amdhsa_fp16_overflow 0
		.amdhsa_tg_split 0
		.amdhsa_exception_fp_ieee_invalid_op 0
		.amdhsa_exception_fp_denorm_src 0
		.amdhsa_exception_fp_ieee_div_zero 0
		.amdhsa_exception_fp_ieee_overflow 0
		.amdhsa_exception_fp_ieee_underflow 0
		.amdhsa_exception_fp_ieee_inexact 0
		.amdhsa_exception_int_div_zero 0
	.end_amdhsa_kernel
	.section	.text._Z16operation_kernelIiLj256ELj4EL23memory_operation_method4E9operationIL16kernel_operation4EiLj4ELj256EEEvPT_S5_T3_,"axG",@progbits,_Z16operation_kernelIiLj256ELj4EL23memory_operation_method4E9operationIL16kernel_operation4EiLj4ELj256EEEvPT_S5_T3_,comdat
.Lfunc_end98:
	.size	_Z16operation_kernelIiLj256ELj4EL23memory_operation_method4E9operationIL16kernel_operation4EiLj4ELj256EEEvPT_S5_T3_, .Lfunc_end98-_Z16operation_kernelIiLj256ELj4EL23memory_operation_method4E9operationIL16kernel_operation4EiLj4ELj256EEEvPT_S5_T3_
                                        ; -- End function
	.section	.AMDGPU.csdata,"",@progbits
; Kernel info:
; codeLenInByte = 468
; NumSgprs: 11
; NumVgprs: 17
; NumAgprs: 0
; TotalNumVgprs: 17
; ScratchSize: 0
; MemoryBound: 0
; FloatMode: 240
; IeeeMode: 1
; LDSByteSize: 4224 bytes/workgroup (compile time only)
; SGPRBlocks: 1
; VGPRBlocks: 2
; NumSGPRsForWavesPerEU: 11
; NumVGPRsForWavesPerEU: 17
; AccumOffset: 20
; Occupancy: 8
; WaveLimiterHint : 1
; COMPUTE_PGM_RSRC2:SCRATCH_EN: 0
; COMPUTE_PGM_RSRC2:USER_SGPR: 6
; COMPUTE_PGM_RSRC2:TRAP_HANDLER: 0
; COMPUTE_PGM_RSRC2:TGID_X_EN: 1
; COMPUTE_PGM_RSRC2:TGID_Y_EN: 0
; COMPUTE_PGM_RSRC2:TGID_Z_EN: 0
; COMPUTE_PGM_RSRC2:TIDIG_COMP_CNT: 0
; COMPUTE_PGM_RSRC3_GFX90A:ACCUM_OFFSET: 4
; COMPUTE_PGM_RSRC3_GFX90A:TG_SPLIT: 0
	.section	.text._Z16operation_kernelIiLj256ELj8EL23memory_operation_method4E9operationIL16kernel_operation4EiLj8ELj256EEEvPT_S5_T3_,"axG",@progbits,_Z16operation_kernelIiLj256ELj8EL23memory_operation_method4E9operationIL16kernel_operation4EiLj8ELj256EEEvPT_S5_T3_,comdat
	.protected	_Z16operation_kernelIiLj256ELj8EL23memory_operation_method4E9operationIL16kernel_operation4EiLj8ELj256EEEvPT_S5_T3_ ; -- Begin function _Z16operation_kernelIiLj256ELj8EL23memory_operation_method4E9operationIL16kernel_operation4EiLj8ELj256EEEvPT_S5_T3_
	.globl	_Z16operation_kernelIiLj256ELj8EL23memory_operation_method4E9operationIL16kernel_operation4EiLj8ELj256EEEvPT_S5_T3_
	.p2align	8
	.type	_Z16operation_kernelIiLj256ELj8EL23memory_operation_method4E9operationIL16kernel_operation4EiLj8ELj256EEEvPT_S5_T3_,@function
_Z16operation_kernelIiLj256ELj8EL23memory_operation_method4E9operationIL16kernel_operation4EiLj8ELj256EEEvPT_S5_T3_: ; @_Z16operation_kernelIiLj256ELj8EL23memory_operation_method4E9operationIL16kernel_operation4EiLj8ELj256EEEvPT_S5_T3_
; %bb.0:
	s_load_dwordx4 s[0:3], s[4:5], 0x0
	s_lshl_b32 s4, s6, 11
	s_mov_b32 s5, 0
	s_lshl_b64 s[4:5], s[4:5], 2
	v_mbcnt_lo_u32_b32 v1, -1, 0
	s_waitcnt lgkmcnt(0)
	s_add_u32 s0, s0, s4
	v_mbcnt_hi_u32_b32 v1, -1, v1
	s_addc_u32 s1, s1, s5
	v_lshlrev_b32_e32 v2, 3, v0
	v_lshlrev_b32_e32 v8, 2, v1
	v_and_b32_e32 v4, 0x600, v2
	v_mov_b32_e32 v2, s1
	v_add_co_u32_e32 v3, vcc, s0, v8
	v_addc_co_u32_e32 v5, vcc, 0, v2, vcc
	v_lshlrev_b32_e32 v9, 2, v4
	v_add_co_u32_e32 v2, vcc, v3, v9
	v_addc_co_u32_e32 v3, vcc, 0, v5, vcc
	global_load_dword v5, v[2:3], off
	global_load_dword v6, v[2:3], off offset:256
	global_load_dword v7, v[2:3], off offset:512
	;; [unrolled: 1-line block ×7, first 2 shown]
	v_and_b32_e32 v2, 0xc0, v0
	v_lshlrev_b32_e32 v16, 5, v0
	v_add_u32_e32 v0, v1, v2
	v_or_b32_e32 v1, v1, v4
	v_lshlrev_b32_e32 v2, 3, v0
	v_bfe_u32 v0, v0, 2, 27
	v_lshrrev_b32_e32 v3, 5, v1
	v_add_u32_e32 v4, 64, v1
	v_or_b32_e32 v17, 0x80, v1
	v_add_u32_e32 v18, 0xc0, v1
	v_or_b32_e32 v19, 0x100, v1
	v_add_u32_e32 v20, 0x140, v1
	v_or_b32_e32 v21, 0x180, v1
	v_add_u32_e32 v22, 0x1c0, v1
	v_mov_b32_e32 v15, 0x29a
	v_add_lshl_u32 v23, v0, v2, 2
	v_add_lshl_u32 v24, v3, v1, 2
	v_lshrrev_b32_e32 v0, 5, v4
	v_lshrrev_b32_e32 v1, 5, v17
	;; [unrolled: 1-line block ×7, first 2 shown]
	v_add_lshl_u32 v28, v0, v4, 2
	v_add_lshl_u32 v17, v1, v17, 2
	;; [unrolled: 1-line block ×7, first 2 shown]
	s_add_u32 s0, s2, s4
	s_addc_u32 s1, s3, s5
	s_waitcnt vmcnt(7)
	ds_write_b32 v24, v5
	s_waitcnt vmcnt(6)
	ds_write_b32 v28, v6
	s_waitcnt vmcnt(5)
	ds_write_b32 v17, v7
	s_waitcnt vmcnt(4)
	ds_write_b32 v18, v10
	s_waitcnt vmcnt(3)
	ds_write_b32 v19, v11
	s_waitcnt vmcnt(2)
	ds_write_b32 v20, v12
	s_waitcnt vmcnt(1)
	ds_write_b32 v21, v13
	s_waitcnt vmcnt(0)
	ds_write_b32 v22, v14
	; wave barrier
	ds_read2_b32 v[0:1], v23 offset1:1
	ds_read2_b32 v[2:3], v23 offset0:2 offset1:3
	ds_read2_b32 v[4:5], v23 offset0:4 offset1:5
	;; [unrolled: 1-line block ×3, first 2 shown]
	global_atomic_add v16, v15, s[2:3]
	global_atomic_add v16, v15, s[2:3] offset:4
	global_atomic_add v16, v15, s[2:3] offset:8
	;; [unrolled: 1-line block ×7, first 2 shown]
	s_waitcnt lgkmcnt(0)
	s_barrier
	ds_write2_b32 v23, v0, v1 offset1:1
	ds_write2_b32 v23, v2, v3 offset0:2 offset1:3
	ds_write2_b32 v23, v4, v5 offset0:4 offset1:5
	;; [unrolled: 1-line block ×3, first 2 shown]
	; wave barrier
	ds_read_b32 v2, v24
	ds_read_b32 v3, v28
	;; [unrolled: 1-line block ×8, first 2 shown]
	v_mov_b32_e32 v0, s1
	v_add_co_u32_e32 v1, vcc, s0, v8
	v_addc_co_u32_e32 v8, vcc, 0, v0, vcc
	v_add_co_u32_e32 v0, vcc, v1, v9
	v_addc_co_u32_e32 v1, vcc, 0, v8, vcc
	s_waitcnt lgkmcnt(7)
	global_store_dword v[0:1], v2, off
	s_waitcnt lgkmcnt(6)
	global_store_dword v[0:1], v3, off offset:256
	s_waitcnt lgkmcnt(5)
	global_store_dword v[0:1], v4, off offset:512
	s_waitcnt lgkmcnt(4)
	global_store_dword v[0:1], v5, off offset:768
	s_waitcnt lgkmcnt(3)
	global_store_dword v[0:1], v6, off offset:1024
	s_waitcnt lgkmcnt(2)
	global_store_dword v[0:1], v7, off offset:1280
	s_waitcnt lgkmcnt(1)
	global_store_dword v[0:1], v10, off offset:1536
	s_waitcnt lgkmcnt(0)
	global_store_dword v[0:1], v11, off offset:1792
	s_endpgm
	.section	.rodata,"a",@progbits
	.p2align	6, 0x0
	.amdhsa_kernel _Z16operation_kernelIiLj256ELj8EL23memory_operation_method4E9operationIL16kernel_operation4EiLj8ELj256EEEvPT_S5_T3_
		.amdhsa_group_segment_fixed_size 8448
		.amdhsa_private_segment_fixed_size 0
		.amdhsa_kernarg_size 20
		.amdhsa_user_sgpr_count 6
		.amdhsa_user_sgpr_private_segment_buffer 1
		.amdhsa_user_sgpr_dispatch_ptr 0
		.amdhsa_user_sgpr_queue_ptr 0
		.amdhsa_user_sgpr_kernarg_segment_ptr 1
		.amdhsa_user_sgpr_dispatch_id 0
		.amdhsa_user_sgpr_flat_scratch_init 0
		.amdhsa_user_sgpr_kernarg_preload_length 0
		.amdhsa_user_sgpr_kernarg_preload_offset 0
		.amdhsa_user_sgpr_private_segment_size 0
		.amdhsa_uses_dynamic_stack 0
		.amdhsa_system_sgpr_private_segment_wavefront_offset 0
		.amdhsa_system_sgpr_workgroup_id_x 1
		.amdhsa_system_sgpr_workgroup_id_y 0
		.amdhsa_system_sgpr_workgroup_id_z 0
		.amdhsa_system_sgpr_workgroup_info 0
		.amdhsa_system_vgpr_workitem_id 0
		.amdhsa_next_free_vgpr 29
		.amdhsa_next_free_sgpr 7
		.amdhsa_accum_offset 32
		.amdhsa_reserve_vcc 1
		.amdhsa_reserve_flat_scratch 0
		.amdhsa_float_round_mode_32 0
		.amdhsa_float_round_mode_16_64 0
		.amdhsa_float_denorm_mode_32 3
		.amdhsa_float_denorm_mode_16_64 3
		.amdhsa_dx10_clamp 1
		.amdhsa_ieee_mode 1
		.amdhsa_fp16_overflow 0
		.amdhsa_tg_split 0
		.amdhsa_exception_fp_ieee_invalid_op 0
		.amdhsa_exception_fp_denorm_src 0
		.amdhsa_exception_fp_ieee_div_zero 0
		.amdhsa_exception_fp_ieee_overflow 0
		.amdhsa_exception_fp_ieee_underflow 0
		.amdhsa_exception_fp_ieee_inexact 0
		.amdhsa_exception_int_div_zero 0
	.end_amdhsa_kernel
	.section	.text._Z16operation_kernelIiLj256ELj8EL23memory_operation_method4E9operationIL16kernel_operation4EiLj8ELj256EEEvPT_S5_T3_,"axG",@progbits,_Z16operation_kernelIiLj256ELj8EL23memory_operation_method4E9operationIL16kernel_operation4EiLj8ELj256EEEvPT_S5_T3_,comdat
.Lfunc_end99:
	.size	_Z16operation_kernelIiLj256ELj8EL23memory_operation_method4E9operationIL16kernel_operation4EiLj8ELj256EEEvPT_S5_T3_, .Lfunc_end99-_Z16operation_kernelIiLj256ELj8EL23memory_operation_method4E9operationIL16kernel_operation4EiLj8ELj256EEEvPT_S5_T3_
                                        ; -- End function
	.section	.AMDGPU.csdata,"",@progbits
; Kernel info:
; codeLenInByte = 772
; NumSgprs: 11
; NumVgprs: 29
; NumAgprs: 0
; TotalNumVgprs: 29
; ScratchSize: 0
; MemoryBound: 0
; FloatMode: 240
; IeeeMode: 1
; LDSByteSize: 8448 bytes/workgroup (compile time only)
; SGPRBlocks: 1
; VGPRBlocks: 3
; NumSGPRsForWavesPerEU: 11
; NumVGPRsForWavesPerEU: 29
; AccumOffset: 32
; Occupancy: 7
; WaveLimiterHint : 1
; COMPUTE_PGM_RSRC2:SCRATCH_EN: 0
; COMPUTE_PGM_RSRC2:USER_SGPR: 6
; COMPUTE_PGM_RSRC2:TRAP_HANDLER: 0
; COMPUTE_PGM_RSRC2:TGID_X_EN: 1
; COMPUTE_PGM_RSRC2:TGID_Y_EN: 0
; COMPUTE_PGM_RSRC2:TGID_Z_EN: 0
; COMPUTE_PGM_RSRC2:TIDIG_COMP_CNT: 0
; COMPUTE_PGM_RSRC3_GFX90A:ACCUM_OFFSET: 7
; COMPUTE_PGM_RSRC3_GFX90A:TG_SPLIT: 0
	.section	.text._Z16operation_kernelIiLj256ELj1EL23memory_operation_method0E9operationIL16kernel_operation5EiLj1ELj256EEEvPT_S5_T3_,"axG",@progbits,_Z16operation_kernelIiLj256ELj1EL23memory_operation_method0E9operationIL16kernel_operation5EiLj1ELj256EEEvPT_S5_T3_,comdat
	.protected	_Z16operation_kernelIiLj256ELj1EL23memory_operation_method0E9operationIL16kernel_operation5EiLj1ELj256EEEvPT_S5_T3_ ; -- Begin function _Z16operation_kernelIiLj256ELj1EL23memory_operation_method0E9operationIL16kernel_operation5EiLj1ELj256EEEvPT_S5_T3_
	.globl	_Z16operation_kernelIiLj256ELj1EL23memory_operation_method0E9operationIL16kernel_operation5EiLj1ELj256EEEvPT_S5_T3_
	.p2align	8
	.type	_Z16operation_kernelIiLj256ELj1EL23memory_operation_method0E9operationIL16kernel_operation5EiLj1ELj256EEEvPT_S5_T3_,@function
_Z16operation_kernelIiLj256ELj1EL23memory_operation_method0E9operationIL16kernel_operation5EiLj1ELj256EEEvPT_S5_T3_: ; @_Z16operation_kernelIiLj256ELj1EL23memory_operation_method0E9operationIL16kernel_operation5EiLj1ELj256EEEvPT_S5_T3_
; %bb.0:
	s_load_dwordx4 s[0:3], s[4:5], 0x0
	s_load_dword s7, s[4:5], 0x24
	s_lshl_b32 s4, s6, 8
	s_mov_b32 s5, 0
	s_lshl_b64 s[4:5], s[4:5], 2
	s_waitcnt lgkmcnt(0)
	s_add_u32 s0, s0, s4
	s_addc_u32 s1, s1, s5
	v_lshlrev_b32_e32 v2, 2, v0
	global_load_dword v3, v2, s[0:1]
	s_and_b32 s0, s7, 0xffff
	v_and_b32_e32 v0, 63, v0
	s_mul_i32 s6, s6, s0
	v_add_u32_e32 v0, s6, v0
	v_mov_b32_e32 v1, 0
	v_lshlrev_b64 v[0:1], 2, v[0:1]
	v_mov_b32_e32 v4, s3
	v_add_co_u32_e32 v0, vcc, s2, v0
	v_addc_co_u32_e32 v1, vcc, v4, v1, vcc
	v_mov_b32_e32 v4, 0x29a
	global_atomic_add v[0:1], v4, off
	s_add_u32 s0, s2, s4
	s_addc_u32 s1, s3, s5
	s_barrier
	s_waitcnt vmcnt(1)
	global_store_dword v2, v3, s[0:1]
	s_endpgm
	.section	.rodata,"a",@progbits
	.p2align	6, 0x0
	.amdhsa_kernel _Z16operation_kernelIiLj256ELj1EL23memory_operation_method0E9operationIL16kernel_operation5EiLj1ELj256EEEvPT_S5_T3_
		.amdhsa_group_segment_fixed_size 0
		.amdhsa_private_segment_fixed_size 0
		.amdhsa_kernarg_size 280
		.amdhsa_user_sgpr_count 6
		.amdhsa_user_sgpr_private_segment_buffer 1
		.amdhsa_user_sgpr_dispatch_ptr 0
		.amdhsa_user_sgpr_queue_ptr 0
		.amdhsa_user_sgpr_kernarg_segment_ptr 1
		.amdhsa_user_sgpr_dispatch_id 0
		.amdhsa_user_sgpr_flat_scratch_init 0
		.amdhsa_user_sgpr_kernarg_preload_length 0
		.amdhsa_user_sgpr_kernarg_preload_offset 0
		.amdhsa_user_sgpr_private_segment_size 0
		.amdhsa_uses_dynamic_stack 0
		.amdhsa_system_sgpr_private_segment_wavefront_offset 0
		.amdhsa_system_sgpr_workgroup_id_x 1
		.amdhsa_system_sgpr_workgroup_id_y 0
		.amdhsa_system_sgpr_workgroup_id_z 0
		.amdhsa_system_sgpr_workgroup_info 0
		.amdhsa_system_vgpr_workitem_id 0
		.amdhsa_next_free_vgpr 5
		.amdhsa_next_free_sgpr 8
		.amdhsa_accum_offset 8
		.amdhsa_reserve_vcc 1
		.amdhsa_reserve_flat_scratch 0
		.amdhsa_float_round_mode_32 0
		.amdhsa_float_round_mode_16_64 0
		.amdhsa_float_denorm_mode_32 3
		.amdhsa_float_denorm_mode_16_64 3
		.amdhsa_dx10_clamp 1
		.amdhsa_ieee_mode 1
		.amdhsa_fp16_overflow 0
		.amdhsa_tg_split 0
		.amdhsa_exception_fp_ieee_invalid_op 0
		.amdhsa_exception_fp_denorm_src 0
		.amdhsa_exception_fp_ieee_div_zero 0
		.amdhsa_exception_fp_ieee_overflow 0
		.amdhsa_exception_fp_ieee_underflow 0
		.amdhsa_exception_fp_ieee_inexact 0
		.amdhsa_exception_int_div_zero 0
	.end_amdhsa_kernel
	.section	.text._Z16operation_kernelIiLj256ELj1EL23memory_operation_method0E9operationIL16kernel_operation5EiLj1ELj256EEEvPT_S5_T3_,"axG",@progbits,_Z16operation_kernelIiLj256ELj1EL23memory_operation_method0E9operationIL16kernel_operation5EiLj1ELj256EEEvPT_S5_T3_,comdat
.Lfunc_end100:
	.size	_Z16operation_kernelIiLj256ELj1EL23memory_operation_method0E9operationIL16kernel_operation5EiLj1ELj256EEEvPT_S5_T3_, .Lfunc_end100-_Z16operation_kernelIiLj256ELj1EL23memory_operation_method0E9operationIL16kernel_operation5EiLj1ELj256EEEvPT_S5_T3_
                                        ; -- End function
	.section	.AMDGPU.csdata,"",@progbits
; Kernel info:
; codeLenInByte = 140
; NumSgprs: 12
; NumVgprs: 5
; NumAgprs: 0
; TotalNumVgprs: 5
; ScratchSize: 0
; MemoryBound: 0
; FloatMode: 240
; IeeeMode: 1
; LDSByteSize: 0 bytes/workgroup (compile time only)
; SGPRBlocks: 1
; VGPRBlocks: 0
; NumSGPRsForWavesPerEU: 12
; NumVGPRsForWavesPerEU: 5
; AccumOffset: 8
; Occupancy: 8
; WaveLimiterHint : 0
; COMPUTE_PGM_RSRC2:SCRATCH_EN: 0
; COMPUTE_PGM_RSRC2:USER_SGPR: 6
; COMPUTE_PGM_RSRC2:TRAP_HANDLER: 0
; COMPUTE_PGM_RSRC2:TGID_X_EN: 1
; COMPUTE_PGM_RSRC2:TGID_Y_EN: 0
; COMPUTE_PGM_RSRC2:TGID_Z_EN: 0
; COMPUTE_PGM_RSRC2:TIDIG_COMP_CNT: 0
; COMPUTE_PGM_RSRC3_GFX90A:ACCUM_OFFSET: 1
; COMPUTE_PGM_RSRC3_GFX90A:TG_SPLIT: 0
	.section	.text._Z16operation_kernelIiLj256ELj2EL23memory_operation_method0E9operationIL16kernel_operation5EiLj2ELj256EEEvPT_S5_T3_,"axG",@progbits,_Z16operation_kernelIiLj256ELj2EL23memory_operation_method0E9operationIL16kernel_operation5EiLj2ELj256EEEvPT_S5_T3_,comdat
	.protected	_Z16operation_kernelIiLj256ELj2EL23memory_operation_method0E9operationIL16kernel_operation5EiLj2ELj256EEEvPT_S5_T3_ ; -- Begin function _Z16operation_kernelIiLj256ELj2EL23memory_operation_method0E9operationIL16kernel_operation5EiLj2ELj256EEEvPT_S5_T3_
	.globl	_Z16operation_kernelIiLj256ELj2EL23memory_operation_method0E9operationIL16kernel_operation5EiLj2ELj256EEEvPT_S5_T3_
	.p2align	8
	.type	_Z16operation_kernelIiLj256ELj2EL23memory_operation_method0E9operationIL16kernel_operation5EiLj2ELj256EEEvPT_S5_T3_,@function
_Z16operation_kernelIiLj256ELj2EL23memory_operation_method0E9operationIL16kernel_operation5EiLj2ELj256EEEvPT_S5_T3_: ; @_Z16operation_kernelIiLj256ELj2EL23memory_operation_method0E9operationIL16kernel_operation5EiLj2ELj256EEEvPT_S5_T3_
; %bb.0:
	s_load_dwordx4 s[0:3], s[4:5], 0x0
	s_load_dword s7, s[4:5], 0x24
	s_lshl_b32 s4, s6, 9
	s_mov_b32 s5, 0
	s_lshl_b64 s[4:5], s[4:5], 2
	s_waitcnt lgkmcnt(0)
	s_add_u32 s0, s0, s4
	s_addc_u32 s1, s1, s5
	s_and_b32 s7, s7, 0xffff
	v_lshlrev_b32_e32 v4, 3, v0
	s_mul_i32 s6, s6, s7
	v_and_b32_e32 v0, 63, v0
	v_add_lshl_u32 v0, s6, v0, 1
	v_mov_b32_e32 v1, 0
	v_lshlrev_b64 v[0:1], 2, v[0:1]
	v_mov_b32_e32 v2, s3
	v_add_co_u32_e32 v0, vcc, s2, v0
	v_addc_co_u32_e32 v1, vcc, v2, v1, vcc
	v_mov_b32_e32 v5, 0x29a
	global_load_dwordx2 v[2:3], v4, s[0:1]
	s_nop 0
	global_atomic_add v[0:1], v5, off
	global_atomic_add v[0:1], v5, off offset:4
	s_add_u32 s0, s2, s4
	s_addc_u32 s1, s3, s5
	s_barrier
	s_waitcnt vmcnt(2)
	global_store_dwordx2 v4, v[2:3], s[0:1]
	s_endpgm
	.section	.rodata,"a",@progbits
	.p2align	6, 0x0
	.amdhsa_kernel _Z16operation_kernelIiLj256ELj2EL23memory_operation_method0E9operationIL16kernel_operation5EiLj2ELj256EEEvPT_S5_T3_
		.amdhsa_group_segment_fixed_size 0
		.amdhsa_private_segment_fixed_size 0
		.amdhsa_kernarg_size 280
		.amdhsa_user_sgpr_count 6
		.amdhsa_user_sgpr_private_segment_buffer 1
		.amdhsa_user_sgpr_dispatch_ptr 0
		.amdhsa_user_sgpr_queue_ptr 0
		.amdhsa_user_sgpr_kernarg_segment_ptr 1
		.amdhsa_user_sgpr_dispatch_id 0
		.amdhsa_user_sgpr_flat_scratch_init 0
		.amdhsa_user_sgpr_kernarg_preload_length 0
		.amdhsa_user_sgpr_kernarg_preload_offset 0
		.amdhsa_user_sgpr_private_segment_size 0
		.amdhsa_uses_dynamic_stack 0
		.amdhsa_system_sgpr_private_segment_wavefront_offset 0
		.amdhsa_system_sgpr_workgroup_id_x 1
		.amdhsa_system_sgpr_workgroup_id_y 0
		.amdhsa_system_sgpr_workgroup_id_z 0
		.amdhsa_system_sgpr_workgroup_info 0
		.amdhsa_system_vgpr_workitem_id 0
		.amdhsa_next_free_vgpr 6
		.amdhsa_next_free_sgpr 8
		.amdhsa_accum_offset 8
		.amdhsa_reserve_vcc 1
		.amdhsa_reserve_flat_scratch 0
		.amdhsa_float_round_mode_32 0
		.amdhsa_float_round_mode_16_64 0
		.amdhsa_float_denorm_mode_32 3
		.amdhsa_float_denorm_mode_16_64 3
		.amdhsa_dx10_clamp 1
		.amdhsa_ieee_mode 1
		.amdhsa_fp16_overflow 0
		.amdhsa_tg_split 0
		.amdhsa_exception_fp_ieee_invalid_op 0
		.amdhsa_exception_fp_denorm_src 0
		.amdhsa_exception_fp_ieee_div_zero 0
		.amdhsa_exception_fp_ieee_overflow 0
		.amdhsa_exception_fp_ieee_underflow 0
		.amdhsa_exception_fp_ieee_inexact 0
		.amdhsa_exception_int_div_zero 0
	.end_amdhsa_kernel
	.section	.text._Z16operation_kernelIiLj256ELj2EL23memory_operation_method0E9operationIL16kernel_operation5EiLj2ELj256EEEvPT_S5_T3_,"axG",@progbits,_Z16operation_kernelIiLj256ELj2EL23memory_operation_method0E9operationIL16kernel_operation5EiLj2ELj256EEEvPT_S5_T3_,comdat
.Lfunc_end101:
	.size	_Z16operation_kernelIiLj256ELj2EL23memory_operation_method0E9operationIL16kernel_operation5EiLj2ELj256EEEvPT_S5_T3_, .Lfunc_end101-_Z16operation_kernelIiLj256ELj2EL23memory_operation_method0E9operationIL16kernel_operation5EiLj2ELj256EEEvPT_S5_T3_
                                        ; -- End function
	.section	.AMDGPU.csdata,"",@progbits
; Kernel info:
; codeLenInByte = 156
; NumSgprs: 12
; NumVgprs: 6
; NumAgprs: 0
; TotalNumVgprs: 6
; ScratchSize: 0
; MemoryBound: 0
; FloatMode: 240
; IeeeMode: 1
; LDSByteSize: 0 bytes/workgroup (compile time only)
; SGPRBlocks: 1
; VGPRBlocks: 0
; NumSGPRsForWavesPerEU: 12
; NumVGPRsForWavesPerEU: 6
; AccumOffset: 8
; Occupancy: 8
; WaveLimiterHint : 0
; COMPUTE_PGM_RSRC2:SCRATCH_EN: 0
; COMPUTE_PGM_RSRC2:USER_SGPR: 6
; COMPUTE_PGM_RSRC2:TRAP_HANDLER: 0
; COMPUTE_PGM_RSRC2:TGID_X_EN: 1
; COMPUTE_PGM_RSRC2:TGID_Y_EN: 0
; COMPUTE_PGM_RSRC2:TGID_Z_EN: 0
; COMPUTE_PGM_RSRC2:TIDIG_COMP_CNT: 0
; COMPUTE_PGM_RSRC3_GFX90A:ACCUM_OFFSET: 1
; COMPUTE_PGM_RSRC3_GFX90A:TG_SPLIT: 0
	.section	.text._Z16operation_kernelIiLj256ELj4EL23memory_operation_method0E9operationIL16kernel_operation5EiLj4ELj256EEEvPT_S5_T3_,"axG",@progbits,_Z16operation_kernelIiLj256ELj4EL23memory_operation_method0E9operationIL16kernel_operation5EiLj4ELj256EEEvPT_S5_T3_,comdat
	.protected	_Z16operation_kernelIiLj256ELj4EL23memory_operation_method0E9operationIL16kernel_operation5EiLj4ELj256EEEvPT_S5_T3_ ; -- Begin function _Z16operation_kernelIiLj256ELj4EL23memory_operation_method0E9operationIL16kernel_operation5EiLj4ELj256EEEvPT_S5_T3_
	.globl	_Z16operation_kernelIiLj256ELj4EL23memory_operation_method0E9operationIL16kernel_operation5EiLj4ELj256EEEvPT_S5_T3_
	.p2align	8
	.type	_Z16operation_kernelIiLj256ELj4EL23memory_operation_method0E9operationIL16kernel_operation5EiLj4ELj256EEEvPT_S5_T3_,@function
_Z16operation_kernelIiLj256ELj4EL23memory_operation_method0E9operationIL16kernel_operation5EiLj4ELj256EEEvPT_S5_T3_: ; @_Z16operation_kernelIiLj256ELj4EL23memory_operation_method0E9operationIL16kernel_operation5EiLj4ELj256EEEvPT_S5_T3_
; %bb.0:
	s_load_dwordx4 s[0:3], s[4:5], 0x0
	s_load_dword s7, s[4:5], 0x24
	s_lshl_b32 s4, s6, 10
	s_mov_b32 s5, 0
	s_lshl_b64 s[4:5], s[4:5], 2
	s_waitcnt lgkmcnt(0)
	s_add_u32 s0, s0, s4
	s_addc_u32 s1, s1, s5
	s_and_b32 s7, s7, 0xffff
	v_lshlrev_b32_e32 v6, 4, v0
	s_mul_i32 s6, s6, s7
	v_and_b32_e32 v0, 63, v0
	v_add_lshl_u32 v0, s6, v0, 2
	v_mov_b32_e32 v1, 0
	v_lshlrev_b64 v[0:1], 2, v[0:1]
	v_mov_b32_e32 v2, s3
	v_add_co_u32_e32 v4, vcc, s2, v0
	v_addc_co_u32_e32 v5, vcc, v2, v1, vcc
	v_mov_b32_e32 v7, 0x29a
	global_load_dwordx4 v[0:3], v6, s[0:1]
	s_nop 0
	global_atomic_add v[4:5], v7, off
	global_atomic_add v[4:5], v7, off offset:4
	global_atomic_add v[4:5], v7, off offset:8
	;; [unrolled: 1-line block ×3, first 2 shown]
	s_add_u32 s0, s2, s4
	s_addc_u32 s1, s3, s5
	s_barrier
	s_waitcnt vmcnt(4)
	global_store_dwordx4 v6, v[0:3], s[0:1]
	s_endpgm
	.section	.rodata,"a",@progbits
	.p2align	6, 0x0
	.amdhsa_kernel _Z16operation_kernelIiLj256ELj4EL23memory_operation_method0E9operationIL16kernel_operation5EiLj4ELj256EEEvPT_S5_T3_
		.amdhsa_group_segment_fixed_size 0
		.amdhsa_private_segment_fixed_size 0
		.amdhsa_kernarg_size 280
		.amdhsa_user_sgpr_count 6
		.amdhsa_user_sgpr_private_segment_buffer 1
		.amdhsa_user_sgpr_dispatch_ptr 0
		.amdhsa_user_sgpr_queue_ptr 0
		.amdhsa_user_sgpr_kernarg_segment_ptr 1
		.amdhsa_user_sgpr_dispatch_id 0
		.amdhsa_user_sgpr_flat_scratch_init 0
		.amdhsa_user_sgpr_kernarg_preload_length 0
		.amdhsa_user_sgpr_kernarg_preload_offset 0
		.amdhsa_user_sgpr_private_segment_size 0
		.amdhsa_uses_dynamic_stack 0
		.amdhsa_system_sgpr_private_segment_wavefront_offset 0
		.amdhsa_system_sgpr_workgroup_id_x 1
		.amdhsa_system_sgpr_workgroup_id_y 0
		.amdhsa_system_sgpr_workgroup_id_z 0
		.amdhsa_system_sgpr_workgroup_info 0
		.amdhsa_system_vgpr_workitem_id 0
		.amdhsa_next_free_vgpr 8
		.amdhsa_next_free_sgpr 8
		.amdhsa_accum_offset 8
		.amdhsa_reserve_vcc 1
		.amdhsa_reserve_flat_scratch 0
		.amdhsa_float_round_mode_32 0
		.amdhsa_float_round_mode_16_64 0
		.amdhsa_float_denorm_mode_32 3
		.amdhsa_float_denorm_mode_16_64 3
		.amdhsa_dx10_clamp 1
		.amdhsa_ieee_mode 1
		.amdhsa_fp16_overflow 0
		.amdhsa_tg_split 0
		.amdhsa_exception_fp_ieee_invalid_op 0
		.amdhsa_exception_fp_denorm_src 0
		.amdhsa_exception_fp_ieee_div_zero 0
		.amdhsa_exception_fp_ieee_overflow 0
		.amdhsa_exception_fp_ieee_underflow 0
		.amdhsa_exception_fp_ieee_inexact 0
		.amdhsa_exception_int_div_zero 0
	.end_amdhsa_kernel
	.section	.text._Z16operation_kernelIiLj256ELj4EL23memory_operation_method0E9operationIL16kernel_operation5EiLj4ELj256EEEvPT_S5_T3_,"axG",@progbits,_Z16operation_kernelIiLj256ELj4EL23memory_operation_method0E9operationIL16kernel_operation5EiLj4ELj256EEEvPT_S5_T3_,comdat
.Lfunc_end102:
	.size	_Z16operation_kernelIiLj256ELj4EL23memory_operation_method0E9operationIL16kernel_operation5EiLj4ELj256EEEvPT_S5_T3_, .Lfunc_end102-_Z16operation_kernelIiLj256ELj4EL23memory_operation_method0E9operationIL16kernel_operation5EiLj4ELj256EEEvPT_S5_T3_
                                        ; -- End function
	.section	.AMDGPU.csdata,"",@progbits
; Kernel info:
; codeLenInByte = 172
; NumSgprs: 12
; NumVgprs: 8
; NumAgprs: 0
; TotalNumVgprs: 8
; ScratchSize: 0
; MemoryBound: 0
; FloatMode: 240
; IeeeMode: 1
; LDSByteSize: 0 bytes/workgroup (compile time only)
; SGPRBlocks: 1
; VGPRBlocks: 0
; NumSGPRsForWavesPerEU: 12
; NumVGPRsForWavesPerEU: 8
; AccumOffset: 8
; Occupancy: 8
; WaveLimiterHint : 0
; COMPUTE_PGM_RSRC2:SCRATCH_EN: 0
; COMPUTE_PGM_RSRC2:USER_SGPR: 6
; COMPUTE_PGM_RSRC2:TRAP_HANDLER: 0
; COMPUTE_PGM_RSRC2:TGID_X_EN: 1
; COMPUTE_PGM_RSRC2:TGID_Y_EN: 0
; COMPUTE_PGM_RSRC2:TGID_Z_EN: 0
; COMPUTE_PGM_RSRC2:TIDIG_COMP_CNT: 0
; COMPUTE_PGM_RSRC3_GFX90A:ACCUM_OFFSET: 1
; COMPUTE_PGM_RSRC3_GFX90A:TG_SPLIT: 0
	.section	.text._Z16operation_kernelIiLj256ELj8EL23memory_operation_method0E9operationIL16kernel_operation5EiLj8ELj256EEEvPT_S5_T3_,"axG",@progbits,_Z16operation_kernelIiLj256ELj8EL23memory_operation_method0E9operationIL16kernel_operation5EiLj8ELj256EEEvPT_S5_T3_,comdat
	.protected	_Z16operation_kernelIiLj256ELj8EL23memory_operation_method0E9operationIL16kernel_operation5EiLj8ELj256EEEvPT_S5_T3_ ; -- Begin function _Z16operation_kernelIiLj256ELj8EL23memory_operation_method0E9operationIL16kernel_operation5EiLj8ELj256EEEvPT_S5_T3_
	.globl	_Z16operation_kernelIiLj256ELj8EL23memory_operation_method0E9operationIL16kernel_operation5EiLj8ELj256EEEvPT_S5_T3_
	.p2align	8
	.type	_Z16operation_kernelIiLj256ELj8EL23memory_operation_method0E9operationIL16kernel_operation5EiLj8ELj256EEEvPT_S5_T3_,@function
_Z16operation_kernelIiLj256ELj8EL23memory_operation_method0E9operationIL16kernel_operation5EiLj8ELj256EEEvPT_S5_T3_: ; @_Z16operation_kernelIiLj256ELj8EL23memory_operation_method0E9operationIL16kernel_operation5EiLj8ELj256EEEvPT_S5_T3_
; %bb.0:
	s_load_dwordx4 s[0:3], s[4:5], 0x0
	s_load_dword s7, s[4:5], 0x24
	s_lshl_b32 s4, s6, 11
	s_mov_b32 s5, 0
	s_lshl_b64 s[4:5], s[4:5], 2
	s_waitcnt lgkmcnt(0)
	s_add_u32 s0, s0, s4
	s_addc_u32 s1, s1, s5
	s_and_b32 s7, s7, 0xffff
	v_lshlrev_b32_e32 v10, 5, v0
	s_mul_i32 s6, s6, s7
	v_and_b32_e32 v0, 63, v0
	v_add_lshl_u32 v0, s6, v0, 3
	v_mov_b32_e32 v1, 0
	v_lshlrev_b64 v[0:1], 2, v[0:1]
	v_mov_b32_e32 v2, s3
	v_add_co_u32_e32 v8, vcc, s2, v0
	v_addc_co_u32_e32 v9, vcc, v2, v1, vcc
	v_mov_b32_e32 v11, 0x29a
	global_load_dwordx4 v[0:3], v10, s[0:1] offset:16
	global_load_dwordx4 v[4:7], v10, s[0:1]
	s_nop 0
	global_atomic_add v[8:9], v11, off
	global_atomic_add v[8:9], v11, off offset:4
	global_atomic_add v[8:9], v11, off offset:8
	global_atomic_add v[8:9], v11, off offset:12
	global_atomic_add v[8:9], v11, off offset:16
	global_atomic_add v[8:9], v11, off offset:20
	global_atomic_add v[8:9], v11, off offset:24
	global_atomic_add v[8:9], v11, off offset:28
	s_add_u32 s0, s2, s4
	s_addc_u32 s1, s3, s5
	s_barrier
	s_waitcnt vmcnt(8)
	global_store_dwordx4 v10, v[4:7], s[0:1]
	global_store_dwordx4 v10, v[0:3], s[0:1] offset:16
	s_endpgm
	.section	.rodata,"a",@progbits
	.p2align	6, 0x0
	.amdhsa_kernel _Z16operation_kernelIiLj256ELj8EL23memory_operation_method0E9operationIL16kernel_operation5EiLj8ELj256EEEvPT_S5_T3_
		.amdhsa_group_segment_fixed_size 0
		.amdhsa_private_segment_fixed_size 0
		.amdhsa_kernarg_size 280
		.amdhsa_user_sgpr_count 6
		.amdhsa_user_sgpr_private_segment_buffer 1
		.amdhsa_user_sgpr_dispatch_ptr 0
		.amdhsa_user_sgpr_queue_ptr 0
		.amdhsa_user_sgpr_kernarg_segment_ptr 1
		.amdhsa_user_sgpr_dispatch_id 0
		.amdhsa_user_sgpr_flat_scratch_init 0
		.amdhsa_user_sgpr_kernarg_preload_length 0
		.amdhsa_user_sgpr_kernarg_preload_offset 0
		.amdhsa_user_sgpr_private_segment_size 0
		.amdhsa_uses_dynamic_stack 0
		.amdhsa_system_sgpr_private_segment_wavefront_offset 0
		.amdhsa_system_sgpr_workgroup_id_x 1
		.amdhsa_system_sgpr_workgroup_id_y 0
		.amdhsa_system_sgpr_workgroup_id_z 0
		.amdhsa_system_sgpr_workgroup_info 0
		.amdhsa_system_vgpr_workitem_id 0
		.amdhsa_next_free_vgpr 12
		.amdhsa_next_free_sgpr 8
		.amdhsa_accum_offset 12
		.amdhsa_reserve_vcc 1
		.amdhsa_reserve_flat_scratch 0
		.amdhsa_float_round_mode_32 0
		.amdhsa_float_round_mode_16_64 0
		.amdhsa_float_denorm_mode_32 3
		.amdhsa_float_denorm_mode_16_64 3
		.amdhsa_dx10_clamp 1
		.amdhsa_ieee_mode 1
		.amdhsa_fp16_overflow 0
		.amdhsa_tg_split 0
		.amdhsa_exception_fp_ieee_invalid_op 0
		.amdhsa_exception_fp_denorm_src 0
		.amdhsa_exception_fp_ieee_div_zero 0
		.amdhsa_exception_fp_ieee_overflow 0
		.amdhsa_exception_fp_ieee_underflow 0
		.amdhsa_exception_fp_ieee_inexact 0
		.amdhsa_exception_int_div_zero 0
	.end_amdhsa_kernel
	.section	.text._Z16operation_kernelIiLj256ELj8EL23memory_operation_method0E9operationIL16kernel_operation5EiLj8ELj256EEEvPT_S5_T3_,"axG",@progbits,_Z16operation_kernelIiLj256ELj8EL23memory_operation_method0E9operationIL16kernel_operation5EiLj8ELj256EEEvPT_S5_T3_,comdat
.Lfunc_end103:
	.size	_Z16operation_kernelIiLj256ELj8EL23memory_operation_method0E9operationIL16kernel_operation5EiLj8ELj256EEEvPT_S5_T3_, .Lfunc_end103-_Z16operation_kernelIiLj256ELj8EL23memory_operation_method0E9operationIL16kernel_operation5EiLj8ELj256EEEvPT_S5_T3_
                                        ; -- End function
	.section	.AMDGPU.csdata,"",@progbits
; Kernel info:
; codeLenInByte = 220
; NumSgprs: 12
; NumVgprs: 12
; NumAgprs: 0
; TotalNumVgprs: 12
; ScratchSize: 0
; MemoryBound: 0
; FloatMode: 240
; IeeeMode: 1
; LDSByteSize: 0 bytes/workgroup (compile time only)
; SGPRBlocks: 1
; VGPRBlocks: 1
; NumSGPRsForWavesPerEU: 12
; NumVGPRsForWavesPerEU: 12
; AccumOffset: 12
; Occupancy: 8
; WaveLimiterHint : 0
; COMPUTE_PGM_RSRC2:SCRATCH_EN: 0
; COMPUTE_PGM_RSRC2:USER_SGPR: 6
; COMPUTE_PGM_RSRC2:TRAP_HANDLER: 0
; COMPUTE_PGM_RSRC2:TGID_X_EN: 1
; COMPUTE_PGM_RSRC2:TGID_Y_EN: 0
; COMPUTE_PGM_RSRC2:TGID_Z_EN: 0
; COMPUTE_PGM_RSRC2:TIDIG_COMP_CNT: 0
; COMPUTE_PGM_RSRC3_GFX90A:ACCUM_OFFSET: 2
; COMPUTE_PGM_RSRC3_GFX90A:TG_SPLIT: 0
	.section	.text._Z16operation_kernelIiLj256ELj1EL23memory_operation_method1E9operationIL16kernel_operation5EiLj1ELj256EEEvPT_S5_T3_,"axG",@progbits,_Z16operation_kernelIiLj256ELj1EL23memory_operation_method1E9operationIL16kernel_operation5EiLj1ELj256EEEvPT_S5_T3_,comdat
	.protected	_Z16operation_kernelIiLj256ELj1EL23memory_operation_method1E9operationIL16kernel_operation5EiLj1ELj256EEEvPT_S5_T3_ ; -- Begin function _Z16operation_kernelIiLj256ELj1EL23memory_operation_method1E9operationIL16kernel_operation5EiLj1ELj256EEEvPT_S5_T3_
	.globl	_Z16operation_kernelIiLj256ELj1EL23memory_operation_method1E9operationIL16kernel_operation5EiLj1ELj256EEEvPT_S5_T3_
	.p2align	8
	.type	_Z16operation_kernelIiLj256ELj1EL23memory_operation_method1E9operationIL16kernel_operation5EiLj1ELj256EEEvPT_S5_T3_,@function
_Z16operation_kernelIiLj256ELj1EL23memory_operation_method1E9operationIL16kernel_operation5EiLj1ELj256EEEvPT_S5_T3_: ; @_Z16operation_kernelIiLj256ELj1EL23memory_operation_method1E9operationIL16kernel_operation5EiLj1ELj256EEEvPT_S5_T3_
; %bb.0:
	s_load_dwordx4 s[0:3], s[4:5], 0x0
	s_load_dword s7, s[4:5], 0x24
	s_lshl_b32 s4, s6, 8
	s_mov_b32 s5, 0
	s_lshl_b64 s[4:5], s[4:5], 2
	s_waitcnt lgkmcnt(0)
	s_add_u32 s0, s0, s4
	s_addc_u32 s1, s1, s5
	v_lshlrev_b32_e32 v2, 2, v0
	global_load_dword v3, v2, s[0:1]
	s_and_b32 s0, s7, 0xffff
	v_and_b32_e32 v0, 63, v0
	s_mul_i32 s6, s6, s0
	v_add_u32_e32 v0, s6, v0
	v_mov_b32_e32 v1, 0
	v_lshlrev_b64 v[0:1], 2, v[0:1]
	v_mov_b32_e32 v4, s3
	v_add_co_u32_e32 v0, vcc, s2, v0
	v_addc_co_u32_e32 v1, vcc, v4, v1, vcc
	v_mov_b32_e32 v4, 0x29a
	global_atomic_add v[0:1], v4, off
	s_add_u32 s0, s2, s4
	s_addc_u32 s1, s3, s5
	s_barrier
	s_waitcnt vmcnt(1)
	global_store_dword v2, v3, s[0:1]
	s_endpgm
	.section	.rodata,"a",@progbits
	.p2align	6, 0x0
	.amdhsa_kernel _Z16operation_kernelIiLj256ELj1EL23memory_operation_method1E9operationIL16kernel_operation5EiLj1ELj256EEEvPT_S5_T3_
		.amdhsa_group_segment_fixed_size 0
		.amdhsa_private_segment_fixed_size 0
		.amdhsa_kernarg_size 280
		.amdhsa_user_sgpr_count 6
		.amdhsa_user_sgpr_private_segment_buffer 1
		.amdhsa_user_sgpr_dispatch_ptr 0
		.amdhsa_user_sgpr_queue_ptr 0
		.amdhsa_user_sgpr_kernarg_segment_ptr 1
		.amdhsa_user_sgpr_dispatch_id 0
		.amdhsa_user_sgpr_flat_scratch_init 0
		.amdhsa_user_sgpr_kernarg_preload_length 0
		.amdhsa_user_sgpr_kernarg_preload_offset 0
		.amdhsa_user_sgpr_private_segment_size 0
		.amdhsa_uses_dynamic_stack 0
		.amdhsa_system_sgpr_private_segment_wavefront_offset 0
		.amdhsa_system_sgpr_workgroup_id_x 1
		.amdhsa_system_sgpr_workgroup_id_y 0
		.amdhsa_system_sgpr_workgroup_id_z 0
		.amdhsa_system_sgpr_workgroup_info 0
		.amdhsa_system_vgpr_workitem_id 0
		.amdhsa_next_free_vgpr 5
		.amdhsa_next_free_sgpr 8
		.amdhsa_accum_offset 8
		.amdhsa_reserve_vcc 1
		.amdhsa_reserve_flat_scratch 0
		.amdhsa_float_round_mode_32 0
		.amdhsa_float_round_mode_16_64 0
		.amdhsa_float_denorm_mode_32 3
		.amdhsa_float_denorm_mode_16_64 3
		.amdhsa_dx10_clamp 1
		.amdhsa_ieee_mode 1
		.amdhsa_fp16_overflow 0
		.amdhsa_tg_split 0
		.amdhsa_exception_fp_ieee_invalid_op 0
		.amdhsa_exception_fp_denorm_src 0
		.amdhsa_exception_fp_ieee_div_zero 0
		.amdhsa_exception_fp_ieee_overflow 0
		.amdhsa_exception_fp_ieee_underflow 0
		.amdhsa_exception_fp_ieee_inexact 0
		.amdhsa_exception_int_div_zero 0
	.end_amdhsa_kernel
	.section	.text._Z16operation_kernelIiLj256ELj1EL23memory_operation_method1E9operationIL16kernel_operation5EiLj1ELj256EEEvPT_S5_T3_,"axG",@progbits,_Z16operation_kernelIiLj256ELj1EL23memory_operation_method1E9operationIL16kernel_operation5EiLj1ELj256EEEvPT_S5_T3_,comdat
.Lfunc_end104:
	.size	_Z16operation_kernelIiLj256ELj1EL23memory_operation_method1E9operationIL16kernel_operation5EiLj1ELj256EEEvPT_S5_T3_, .Lfunc_end104-_Z16operation_kernelIiLj256ELj1EL23memory_operation_method1E9operationIL16kernel_operation5EiLj1ELj256EEEvPT_S5_T3_
                                        ; -- End function
	.section	.AMDGPU.csdata,"",@progbits
; Kernel info:
; codeLenInByte = 140
; NumSgprs: 12
; NumVgprs: 5
; NumAgprs: 0
; TotalNumVgprs: 5
; ScratchSize: 0
; MemoryBound: 0
; FloatMode: 240
; IeeeMode: 1
; LDSByteSize: 0 bytes/workgroup (compile time only)
; SGPRBlocks: 1
; VGPRBlocks: 0
; NumSGPRsForWavesPerEU: 12
; NumVGPRsForWavesPerEU: 5
; AccumOffset: 8
; Occupancy: 8
; WaveLimiterHint : 0
; COMPUTE_PGM_RSRC2:SCRATCH_EN: 0
; COMPUTE_PGM_RSRC2:USER_SGPR: 6
; COMPUTE_PGM_RSRC2:TRAP_HANDLER: 0
; COMPUTE_PGM_RSRC2:TGID_X_EN: 1
; COMPUTE_PGM_RSRC2:TGID_Y_EN: 0
; COMPUTE_PGM_RSRC2:TGID_Z_EN: 0
; COMPUTE_PGM_RSRC2:TIDIG_COMP_CNT: 0
; COMPUTE_PGM_RSRC3_GFX90A:ACCUM_OFFSET: 1
; COMPUTE_PGM_RSRC3_GFX90A:TG_SPLIT: 0
	.section	.text._Z16operation_kernelIiLj256ELj2EL23memory_operation_method1E9operationIL16kernel_operation5EiLj2ELj256EEEvPT_S5_T3_,"axG",@progbits,_Z16operation_kernelIiLj256ELj2EL23memory_operation_method1E9operationIL16kernel_operation5EiLj2ELj256EEEvPT_S5_T3_,comdat
	.protected	_Z16operation_kernelIiLj256ELj2EL23memory_operation_method1E9operationIL16kernel_operation5EiLj2ELj256EEEvPT_S5_T3_ ; -- Begin function _Z16operation_kernelIiLj256ELj2EL23memory_operation_method1E9operationIL16kernel_operation5EiLj2ELj256EEEvPT_S5_T3_
	.globl	_Z16operation_kernelIiLj256ELj2EL23memory_operation_method1E9operationIL16kernel_operation5EiLj2ELj256EEEvPT_S5_T3_
	.p2align	8
	.type	_Z16operation_kernelIiLj256ELj2EL23memory_operation_method1E9operationIL16kernel_operation5EiLj2ELj256EEEvPT_S5_T3_,@function
_Z16operation_kernelIiLj256ELj2EL23memory_operation_method1E9operationIL16kernel_operation5EiLj2ELj256EEEvPT_S5_T3_: ; @_Z16operation_kernelIiLj256ELj2EL23memory_operation_method1E9operationIL16kernel_operation5EiLj2ELj256EEEvPT_S5_T3_
; %bb.0:
	s_load_dwordx4 s[0:3], s[4:5], 0x0
	s_load_dword s7, s[4:5], 0x24
	s_lshl_b32 s4, s6, 9
	s_mov_b32 s5, 0
	s_lshl_b64 s[4:5], s[4:5], 2
	s_waitcnt lgkmcnt(0)
	s_add_u32 s0, s0, s4
	s_addc_u32 s1, s1, s5
	v_lshlrev_b32_e32 v2, 2, v0
	global_load_dword v3, v2, s[0:1]
	global_load_dword v4, v2, s[0:1] offset:1024
	s_and_b32 s0, s7, 0xffff
	s_mul_i32 s6, s6, s0
	v_and_b32_e32 v0, 63, v0
	v_add_lshl_u32 v0, s6, v0, 1
	v_mov_b32_e32 v1, 0
	v_lshlrev_b64 v[0:1], 2, v[0:1]
	v_mov_b32_e32 v5, s3
	v_add_co_u32_e32 v0, vcc, s2, v0
	v_addc_co_u32_e32 v1, vcc, v5, v1, vcc
	v_mov_b32_e32 v5, 0x29a
	global_atomic_add v[0:1], v5, off
	global_atomic_add v[0:1], v5, off offset:4
	s_add_u32 s0, s2, s4
	s_addc_u32 s1, s3, s5
	s_barrier
	s_waitcnt vmcnt(3)
	global_store_dword v2, v3, s[0:1]
	s_waitcnt vmcnt(3)
	global_store_dword v2, v4, s[0:1] offset:1024
	s_endpgm
	.section	.rodata,"a",@progbits
	.p2align	6, 0x0
	.amdhsa_kernel _Z16operation_kernelIiLj256ELj2EL23memory_operation_method1E9operationIL16kernel_operation5EiLj2ELj256EEEvPT_S5_T3_
		.amdhsa_group_segment_fixed_size 0
		.amdhsa_private_segment_fixed_size 0
		.amdhsa_kernarg_size 280
		.amdhsa_user_sgpr_count 6
		.amdhsa_user_sgpr_private_segment_buffer 1
		.amdhsa_user_sgpr_dispatch_ptr 0
		.amdhsa_user_sgpr_queue_ptr 0
		.amdhsa_user_sgpr_kernarg_segment_ptr 1
		.amdhsa_user_sgpr_dispatch_id 0
		.amdhsa_user_sgpr_flat_scratch_init 0
		.amdhsa_user_sgpr_kernarg_preload_length 0
		.amdhsa_user_sgpr_kernarg_preload_offset 0
		.amdhsa_user_sgpr_private_segment_size 0
		.amdhsa_uses_dynamic_stack 0
		.amdhsa_system_sgpr_private_segment_wavefront_offset 0
		.amdhsa_system_sgpr_workgroup_id_x 1
		.amdhsa_system_sgpr_workgroup_id_y 0
		.amdhsa_system_sgpr_workgroup_id_z 0
		.amdhsa_system_sgpr_workgroup_info 0
		.amdhsa_system_vgpr_workitem_id 0
		.amdhsa_next_free_vgpr 6
		.amdhsa_next_free_sgpr 8
		.amdhsa_accum_offset 8
		.amdhsa_reserve_vcc 1
		.amdhsa_reserve_flat_scratch 0
		.amdhsa_float_round_mode_32 0
		.amdhsa_float_round_mode_16_64 0
		.amdhsa_float_denorm_mode_32 3
		.amdhsa_float_denorm_mode_16_64 3
		.amdhsa_dx10_clamp 1
		.amdhsa_ieee_mode 1
		.amdhsa_fp16_overflow 0
		.amdhsa_tg_split 0
		.amdhsa_exception_fp_ieee_invalid_op 0
		.amdhsa_exception_fp_denorm_src 0
		.amdhsa_exception_fp_ieee_div_zero 0
		.amdhsa_exception_fp_ieee_overflow 0
		.amdhsa_exception_fp_ieee_underflow 0
		.amdhsa_exception_fp_ieee_inexact 0
		.amdhsa_exception_int_div_zero 0
	.end_amdhsa_kernel
	.section	.text._Z16operation_kernelIiLj256ELj2EL23memory_operation_method1E9operationIL16kernel_operation5EiLj2ELj256EEEvPT_S5_T3_,"axG",@progbits,_Z16operation_kernelIiLj256ELj2EL23memory_operation_method1E9operationIL16kernel_operation5EiLj2ELj256EEEvPT_S5_T3_,comdat
.Lfunc_end105:
	.size	_Z16operation_kernelIiLj256ELj2EL23memory_operation_method1E9operationIL16kernel_operation5EiLj2ELj256EEEvPT_S5_T3_, .Lfunc_end105-_Z16operation_kernelIiLj256ELj2EL23memory_operation_method1E9operationIL16kernel_operation5EiLj2ELj256EEEvPT_S5_T3_
                                        ; -- End function
	.section	.AMDGPU.csdata,"",@progbits
; Kernel info:
; codeLenInByte = 172
; NumSgprs: 12
; NumVgprs: 6
; NumAgprs: 0
; TotalNumVgprs: 6
; ScratchSize: 0
; MemoryBound: 0
; FloatMode: 240
; IeeeMode: 1
; LDSByteSize: 0 bytes/workgroup (compile time only)
; SGPRBlocks: 1
; VGPRBlocks: 0
; NumSGPRsForWavesPerEU: 12
; NumVGPRsForWavesPerEU: 6
; AccumOffset: 8
; Occupancy: 8
; WaveLimiterHint : 1
; COMPUTE_PGM_RSRC2:SCRATCH_EN: 0
; COMPUTE_PGM_RSRC2:USER_SGPR: 6
; COMPUTE_PGM_RSRC2:TRAP_HANDLER: 0
; COMPUTE_PGM_RSRC2:TGID_X_EN: 1
; COMPUTE_PGM_RSRC2:TGID_Y_EN: 0
; COMPUTE_PGM_RSRC2:TGID_Z_EN: 0
; COMPUTE_PGM_RSRC2:TIDIG_COMP_CNT: 0
; COMPUTE_PGM_RSRC3_GFX90A:ACCUM_OFFSET: 1
; COMPUTE_PGM_RSRC3_GFX90A:TG_SPLIT: 0
	.section	.text._Z16operation_kernelIiLj256ELj4EL23memory_operation_method1E9operationIL16kernel_operation5EiLj4ELj256EEEvPT_S5_T3_,"axG",@progbits,_Z16operation_kernelIiLj256ELj4EL23memory_operation_method1E9operationIL16kernel_operation5EiLj4ELj256EEEvPT_S5_T3_,comdat
	.protected	_Z16operation_kernelIiLj256ELj4EL23memory_operation_method1E9operationIL16kernel_operation5EiLj4ELj256EEEvPT_S5_T3_ ; -- Begin function _Z16operation_kernelIiLj256ELj4EL23memory_operation_method1E9operationIL16kernel_operation5EiLj4ELj256EEEvPT_S5_T3_
	.globl	_Z16operation_kernelIiLj256ELj4EL23memory_operation_method1E9operationIL16kernel_operation5EiLj4ELj256EEEvPT_S5_T3_
	.p2align	8
	.type	_Z16operation_kernelIiLj256ELj4EL23memory_operation_method1E9operationIL16kernel_operation5EiLj4ELj256EEEvPT_S5_T3_,@function
_Z16operation_kernelIiLj256ELj4EL23memory_operation_method1E9operationIL16kernel_operation5EiLj4ELj256EEEvPT_S5_T3_: ; @_Z16operation_kernelIiLj256ELj4EL23memory_operation_method1E9operationIL16kernel_operation5EiLj4ELj256EEEvPT_S5_T3_
; %bb.0:
	s_load_dwordx4 s[0:3], s[4:5], 0x0
	s_load_dword s7, s[4:5], 0x24
	s_lshl_b32 s4, s6, 10
	s_mov_b32 s5, 0
	s_lshl_b64 s[4:5], s[4:5], 2
	s_waitcnt lgkmcnt(0)
	s_add_u32 s0, s0, s4
	s_addc_u32 s1, s1, s5
	v_lshlrev_b32_e32 v2, 2, v0
	global_load_dword v3, v2, s[0:1]
	global_load_dword v4, v2, s[0:1] offset:1024
	global_load_dword v5, v2, s[0:1] offset:2048
	;; [unrolled: 1-line block ×3, first 2 shown]
	s_and_b32 s0, s7, 0xffff
	s_mul_i32 s6, s6, s0
	v_and_b32_e32 v0, 63, v0
	v_add_lshl_u32 v0, s6, v0, 2
	v_mov_b32_e32 v1, 0
	v_lshlrev_b64 v[0:1], 2, v[0:1]
	v_mov_b32_e32 v7, s3
	v_add_co_u32_e32 v0, vcc, s2, v0
	v_addc_co_u32_e32 v1, vcc, v7, v1, vcc
	v_mov_b32_e32 v7, 0x29a
	global_atomic_add v[0:1], v7, off
	global_atomic_add v[0:1], v7, off offset:4
	global_atomic_add v[0:1], v7, off offset:8
	;; [unrolled: 1-line block ×3, first 2 shown]
	s_add_u32 s0, s2, s4
	s_addc_u32 s1, s3, s5
	s_barrier
	s_waitcnt vmcnt(7)
	global_store_dword v2, v3, s[0:1]
	s_waitcnt vmcnt(7)
	global_store_dword v2, v4, s[0:1] offset:1024
	s_waitcnt vmcnt(7)
	global_store_dword v2, v5, s[0:1] offset:2048
	;; [unrolled: 2-line block ×3, first 2 shown]
	s_endpgm
	.section	.rodata,"a",@progbits
	.p2align	6, 0x0
	.amdhsa_kernel _Z16operation_kernelIiLj256ELj4EL23memory_operation_method1E9operationIL16kernel_operation5EiLj4ELj256EEEvPT_S5_T3_
		.amdhsa_group_segment_fixed_size 0
		.amdhsa_private_segment_fixed_size 0
		.amdhsa_kernarg_size 280
		.amdhsa_user_sgpr_count 6
		.amdhsa_user_sgpr_private_segment_buffer 1
		.amdhsa_user_sgpr_dispatch_ptr 0
		.amdhsa_user_sgpr_queue_ptr 0
		.amdhsa_user_sgpr_kernarg_segment_ptr 1
		.amdhsa_user_sgpr_dispatch_id 0
		.amdhsa_user_sgpr_flat_scratch_init 0
		.amdhsa_user_sgpr_kernarg_preload_length 0
		.amdhsa_user_sgpr_kernarg_preload_offset 0
		.amdhsa_user_sgpr_private_segment_size 0
		.amdhsa_uses_dynamic_stack 0
		.amdhsa_system_sgpr_private_segment_wavefront_offset 0
		.amdhsa_system_sgpr_workgroup_id_x 1
		.amdhsa_system_sgpr_workgroup_id_y 0
		.amdhsa_system_sgpr_workgroup_id_z 0
		.amdhsa_system_sgpr_workgroup_info 0
		.amdhsa_system_vgpr_workitem_id 0
		.amdhsa_next_free_vgpr 8
		.amdhsa_next_free_sgpr 8
		.amdhsa_accum_offset 8
		.amdhsa_reserve_vcc 1
		.amdhsa_reserve_flat_scratch 0
		.amdhsa_float_round_mode_32 0
		.amdhsa_float_round_mode_16_64 0
		.amdhsa_float_denorm_mode_32 3
		.amdhsa_float_denorm_mode_16_64 3
		.amdhsa_dx10_clamp 1
		.amdhsa_ieee_mode 1
		.amdhsa_fp16_overflow 0
		.amdhsa_tg_split 0
		.amdhsa_exception_fp_ieee_invalid_op 0
		.amdhsa_exception_fp_denorm_src 0
		.amdhsa_exception_fp_ieee_div_zero 0
		.amdhsa_exception_fp_ieee_overflow 0
		.amdhsa_exception_fp_ieee_underflow 0
		.amdhsa_exception_fp_ieee_inexact 0
		.amdhsa_exception_int_div_zero 0
	.end_amdhsa_kernel
	.section	.text._Z16operation_kernelIiLj256ELj4EL23memory_operation_method1E9operationIL16kernel_operation5EiLj4ELj256EEEvPT_S5_T3_,"axG",@progbits,_Z16operation_kernelIiLj256ELj4EL23memory_operation_method1E9operationIL16kernel_operation5EiLj4ELj256EEEvPT_S5_T3_,comdat
.Lfunc_end106:
	.size	_Z16operation_kernelIiLj256ELj4EL23memory_operation_method1E9operationIL16kernel_operation5EiLj4ELj256EEEvPT_S5_T3_, .Lfunc_end106-_Z16operation_kernelIiLj256ELj4EL23memory_operation_method1E9operationIL16kernel_operation5EiLj4ELj256EEEvPT_S5_T3_
                                        ; -- End function
	.section	.AMDGPU.csdata,"",@progbits
; Kernel info:
; codeLenInByte = 228
; NumSgprs: 12
; NumVgprs: 8
; NumAgprs: 0
; TotalNumVgprs: 8
; ScratchSize: 0
; MemoryBound: 0
; FloatMode: 240
; IeeeMode: 1
; LDSByteSize: 0 bytes/workgroup (compile time only)
; SGPRBlocks: 1
; VGPRBlocks: 0
; NumSGPRsForWavesPerEU: 12
; NumVGPRsForWavesPerEU: 8
; AccumOffset: 8
; Occupancy: 8
; WaveLimiterHint : 1
; COMPUTE_PGM_RSRC2:SCRATCH_EN: 0
; COMPUTE_PGM_RSRC2:USER_SGPR: 6
; COMPUTE_PGM_RSRC2:TRAP_HANDLER: 0
; COMPUTE_PGM_RSRC2:TGID_X_EN: 1
; COMPUTE_PGM_RSRC2:TGID_Y_EN: 0
; COMPUTE_PGM_RSRC2:TGID_Z_EN: 0
; COMPUTE_PGM_RSRC2:TIDIG_COMP_CNT: 0
; COMPUTE_PGM_RSRC3_GFX90A:ACCUM_OFFSET: 1
; COMPUTE_PGM_RSRC3_GFX90A:TG_SPLIT: 0
	.section	.text._Z16operation_kernelIiLj256ELj8EL23memory_operation_method1E9operationIL16kernel_operation5EiLj8ELj256EEEvPT_S5_T3_,"axG",@progbits,_Z16operation_kernelIiLj256ELj8EL23memory_operation_method1E9operationIL16kernel_operation5EiLj8ELj256EEEvPT_S5_T3_,comdat
	.protected	_Z16operation_kernelIiLj256ELj8EL23memory_operation_method1E9operationIL16kernel_operation5EiLj8ELj256EEEvPT_S5_T3_ ; -- Begin function _Z16operation_kernelIiLj256ELj8EL23memory_operation_method1E9operationIL16kernel_operation5EiLj8ELj256EEEvPT_S5_T3_
	.globl	_Z16operation_kernelIiLj256ELj8EL23memory_operation_method1E9operationIL16kernel_operation5EiLj8ELj256EEEvPT_S5_T3_
	.p2align	8
	.type	_Z16operation_kernelIiLj256ELj8EL23memory_operation_method1E9operationIL16kernel_operation5EiLj8ELj256EEEvPT_S5_T3_,@function
_Z16operation_kernelIiLj256ELj8EL23memory_operation_method1E9operationIL16kernel_operation5EiLj8ELj256EEEvPT_S5_T3_: ; @_Z16operation_kernelIiLj256ELj8EL23memory_operation_method1E9operationIL16kernel_operation5EiLj8ELj256EEEvPT_S5_T3_
; %bb.0:
	s_load_dwordx4 s[0:3], s[4:5], 0x0
	s_load_dword s7, s[4:5], 0x24
	s_lshl_b32 s4, s6, 11
	s_mov_b32 s5, 0
	s_lshl_b64 s[4:5], s[4:5], 2
	s_waitcnt lgkmcnt(0)
	s_add_u32 s0, s0, s4
	s_addc_u32 s1, s1, s5
	v_lshlrev_b32_e32 v4, 2, v0
	v_mov_b32_e32 v2, s1
	v_add_co_u32_e32 v3, vcc, s0, v4
	v_addc_co_u32_e32 v5, vcc, 0, v2, vcc
	s_movk_i32 s8, 0x1000
	v_add_co_u32_e32 v2, vcc, s8, v3
	v_addc_co_u32_e32 v3, vcc, 0, v5, vcc
	global_load_dword v5, v4, s[0:1]
	global_load_dword v6, v4, s[0:1] offset:1024
	global_load_dword v7, v4, s[0:1] offset:2048
	;; [unrolled: 1-line block ×3, first 2 shown]
	global_load_dword v9, v[2:3], off
	global_load_dword v10, v[2:3], off offset:1024
	global_load_dword v11, v[2:3], off offset:2048
	;; [unrolled: 1-line block ×3, first 2 shown]
	s_and_b32 s0, s7, 0xffff
	s_mul_i32 s6, s6, s0
	v_and_b32_e32 v0, 63, v0
	v_mov_b32_e32 v1, 0
	v_add_lshl_u32 v0, s6, v0, 3
	v_lshlrev_b64 v[0:1], 2, v[0:1]
	v_mov_b32_e32 v2, s3
	v_add_co_u32_e32 v0, vcc, s2, v0
	v_addc_co_u32_e32 v1, vcc, v2, v1, vcc
	v_mov_b32_e32 v2, 0x29a
	global_atomic_add v[0:1], v2, off
	global_atomic_add v[0:1], v2, off offset:4
	global_atomic_add v[0:1], v2, off offset:8
	;; [unrolled: 1-line block ×7, first 2 shown]
	s_add_u32 s0, s2, s4
	s_addc_u32 s1, s3, s5
	v_mov_b32_e32 v0, s1
	v_add_co_u32_e32 v1, vcc, s0, v4
	v_addc_co_u32_e32 v2, vcc, 0, v0, vcc
	v_add_co_u32_e32 v0, vcc, 0x1000, v1
	v_addc_co_u32_e32 v1, vcc, 0, v2, vcc
	s_barrier
	s_waitcnt vmcnt(15)
	global_store_dword v4, v5, s[0:1]
	s_waitcnt vmcnt(15)
	global_store_dword v4, v6, s[0:1] offset:1024
	s_waitcnt vmcnt(15)
	global_store_dword v4, v7, s[0:1] offset:2048
	s_waitcnt vmcnt(15)
	global_store_dword v4, v8, s[0:1] offset:3072
	s_waitcnt vmcnt(15)
	global_store_dword v[0:1], v9, off
	s_waitcnt vmcnt(15)
	global_store_dword v[0:1], v10, off offset:1024
	s_waitcnt vmcnt(15)
	global_store_dword v[0:1], v11, off offset:2048
	s_waitcnt vmcnt(15)
	global_store_dword v[0:1], v12, off offset:3072
	s_endpgm
	.section	.rodata,"a",@progbits
	.p2align	6, 0x0
	.amdhsa_kernel _Z16operation_kernelIiLj256ELj8EL23memory_operation_method1E9operationIL16kernel_operation5EiLj8ELj256EEEvPT_S5_T3_
		.amdhsa_group_segment_fixed_size 0
		.amdhsa_private_segment_fixed_size 0
		.amdhsa_kernarg_size 280
		.amdhsa_user_sgpr_count 6
		.amdhsa_user_sgpr_private_segment_buffer 1
		.amdhsa_user_sgpr_dispatch_ptr 0
		.amdhsa_user_sgpr_queue_ptr 0
		.amdhsa_user_sgpr_kernarg_segment_ptr 1
		.amdhsa_user_sgpr_dispatch_id 0
		.amdhsa_user_sgpr_flat_scratch_init 0
		.amdhsa_user_sgpr_kernarg_preload_length 0
		.amdhsa_user_sgpr_kernarg_preload_offset 0
		.amdhsa_user_sgpr_private_segment_size 0
		.amdhsa_uses_dynamic_stack 0
		.amdhsa_system_sgpr_private_segment_wavefront_offset 0
		.amdhsa_system_sgpr_workgroup_id_x 1
		.amdhsa_system_sgpr_workgroup_id_y 0
		.amdhsa_system_sgpr_workgroup_id_z 0
		.amdhsa_system_sgpr_workgroup_info 0
		.amdhsa_system_vgpr_workitem_id 0
		.amdhsa_next_free_vgpr 13
		.amdhsa_next_free_sgpr 9
		.amdhsa_accum_offset 16
		.amdhsa_reserve_vcc 1
		.amdhsa_reserve_flat_scratch 0
		.amdhsa_float_round_mode_32 0
		.amdhsa_float_round_mode_16_64 0
		.amdhsa_float_denorm_mode_32 3
		.amdhsa_float_denorm_mode_16_64 3
		.amdhsa_dx10_clamp 1
		.amdhsa_ieee_mode 1
		.amdhsa_fp16_overflow 0
		.amdhsa_tg_split 0
		.amdhsa_exception_fp_ieee_invalid_op 0
		.amdhsa_exception_fp_denorm_src 0
		.amdhsa_exception_fp_ieee_div_zero 0
		.amdhsa_exception_fp_ieee_overflow 0
		.amdhsa_exception_fp_ieee_underflow 0
		.amdhsa_exception_fp_ieee_inexact 0
		.amdhsa_exception_int_div_zero 0
	.end_amdhsa_kernel
	.section	.text._Z16operation_kernelIiLj256ELj8EL23memory_operation_method1E9operationIL16kernel_operation5EiLj8ELj256EEEvPT_S5_T3_,"axG",@progbits,_Z16operation_kernelIiLj256ELj8EL23memory_operation_method1E9operationIL16kernel_operation5EiLj8ELj256EEEvPT_S5_T3_,comdat
.Lfunc_end107:
	.size	_Z16operation_kernelIiLj256ELj8EL23memory_operation_method1E9operationIL16kernel_operation5EiLj8ELj256EEEvPT_S5_T3_, .Lfunc_end107-_Z16operation_kernelIiLj256ELj8EL23memory_operation_method1E9operationIL16kernel_operation5EiLj8ELj256EEEvPT_S5_T3_
                                        ; -- End function
	.section	.AMDGPU.csdata,"",@progbits
; Kernel info:
; codeLenInByte = 388
; NumSgprs: 13
; NumVgprs: 13
; NumAgprs: 0
; TotalNumVgprs: 13
; ScratchSize: 0
; MemoryBound: 0
; FloatMode: 240
; IeeeMode: 1
; LDSByteSize: 0 bytes/workgroup (compile time only)
; SGPRBlocks: 1
; VGPRBlocks: 1
; NumSGPRsForWavesPerEU: 13
; NumVGPRsForWavesPerEU: 13
; AccumOffset: 16
; Occupancy: 8
; WaveLimiterHint : 1
; COMPUTE_PGM_RSRC2:SCRATCH_EN: 0
; COMPUTE_PGM_RSRC2:USER_SGPR: 6
; COMPUTE_PGM_RSRC2:TRAP_HANDLER: 0
; COMPUTE_PGM_RSRC2:TGID_X_EN: 1
; COMPUTE_PGM_RSRC2:TGID_Y_EN: 0
; COMPUTE_PGM_RSRC2:TGID_Z_EN: 0
; COMPUTE_PGM_RSRC2:TIDIG_COMP_CNT: 0
; COMPUTE_PGM_RSRC3_GFX90A:ACCUM_OFFSET: 3
; COMPUTE_PGM_RSRC3_GFX90A:TG_SPLIT: 0
	.section	.text._Z16operation_kernelIiLj256ELj1EL23memory_operation_method2E9operationIL16kernel_operation5EiLj1ELj256EEEvPT_S5_T3_,"axG",@progbits,_Z16operation_kernelIiLj256ELj1EL23memory_operation_method2E9operationIL16kernel_operation5EiLj1ELj256EEEvPT_S5_T3_,comdat
	.protected	_Z16operation_kernelIiLj256ELj1EL23memory_operation_method2E9operationIL16kernel_operation5EiLj1ELj256EEEvPT_S5_T3_ ; -- Begin function _Z16operation_kernelIiLj256ELj1EL23memory_operation_method2E9operationIL16kernel_operation5EiLj1ELj256EEEvPT_S5_T3_
	.globl	_Z16operation_kernelIiLj256ELj1EL23memory_operation_method2E9operationIL16kernel_operation5EiLj1ELj256EEEvPT_S5_T3_
	.p2align	8
	.type	_Z16operation_kernelIiLj256ELj1EL23memory_operation_method2E9operationIL16kernel_operation5EiLj1ELj256EEEvPT_S5_T3_,@function
_Z16operation_kernelIiLj256ELj1EL23memory_operation_method2E9operationIL16kernel_operation5EiLj1ELj256EEEvPT_S5_T3_: ; @_Z16operation_kernelIiLj256ELj1EL23memory_operation_method2E9operationIL16kernel_operation5EiLj1ELj256EEEvPT_S5_T3_
; %bb.0:
	s_load_dwordx4 s[0:3], s[4:5], 0x0
	s_load_dword s7, s[4:5], 0x24
	s_lshl_b32 s4, s6, 8
	s_mov_b32 s5, 0
	s_lshl_b64 s[4:5], s[4:5], 2
	s_waitcnt lgkmcnt(0)
	s_add_u32 s0, s0, s4
	s_addc_u32 s1, s1, s5
	v_lshlrev_b32_e32 v2, 2, v0
	global_load_dword v3, v2, s[0:1]
	s_and_b32 s0, s7, 0xffff
	v_and_b32_e32 v0, 63, v0
	s_mul_i32 s6, s6, s0
	v_add_u32_e32 v0, s6, v0
	v_mov_b32_e32 v1, 0
	v_lshlrev_b64 v[0:1], 2, v[0:1]
	v_mov_b32_e32 v4, s3
	v_add_co_u32_e32 v0, vcc, s2, v0
	v_addc_co_u32_e32 v1, vcc, v4, v1, vcc
	v_mov_b32_e32 v4, 0x29a
	global_atomic_add v[0:1], v4, off
	s_add_u32 s0, s2, s4
	s_addc_u32 s1, s3, s5
	s_barrier
	s_waitcnt vmcnt(1)
	global_store_dword v2, v3, s[0:1]
	s_endpgm
	.section	.rodata,"a",@progbits
	.p2align	6, 0x0
	.amdhsa_kernel _Z16operation_kernelIiLj256ELj1EL23memory_operation_method2E9operationIL16kernel_operation5EiLj1ELj256EEEvPT_S5_T3_
		.amdhsa_group_segment_fixed_size 0
		.amdhsa_private_segment_fixed_size 0
		.amdhsa_kernarg_size 280
		.amdhsa_user_sgpr_count 6
		.amdhsa_user_sgpr_private_segment_buffer 1
		.amdhsa_user_sgpr_dispatch_ptr 0
		.amdhsa_user_sgpr_queue_ptr 0
		.amdhsa_user_sgpr_kernarg_segment_ptr 1
		.amdhsa_user_sgpr_dispatch_id 0
		.amdhsa_user_sgpr_flat_scratch_init 0
		.amdhsa_user_sgpr_kernarg_preload_length 0
		.amdhsa_user_sgpr_kernarg_preload_offset 0
		.amdhsa_user_sgpr_private_segment_size 0
		.amdhsa_uses_dynamic_stack 0
		.amdhsa_system_sgpr_private_segment_wavefront_offset 0
		.amdhsa_system_sgpr_workgroup_id_x 1
		.amdhsa_system_sgpr_workgroup_id_y 0
		.amdhsa_system_sgpr_workgroup_id_z 0
		.amdhsa_system_sgpr_workgroup_info 0
		.amdhsa_system_vgpr_workitem_id 0
		.amdhsa_next_free_vgpr 5
		.amdhsa_next_free_sgpr 8
		.amdhsa_accum_offset 8
		.amdhsa_reserve_vcc 1
		.amdhsa_reserve_flat_scratch 0
		.amdhsa_float_round_mode_32 0
		.amdhsa_float_round_mode_16_64 0
		.amdhsa_float_denorm_mode_32 3
		.amdhsa_float_denorm_mode_16_64 3
		.amdhsa_dx10_clamp 1
		.amdhsa_ieee_mode 1
		.amdhsa_fp16_overflow 0
		.amdhsa_tg_split 0
		.amdhsa_exception_fp_ieee_invalid_op 0
		.amdhsa_exception_fp_denorm_src 0
		.amdhsa_exception_fp_ieee_div_zero 0
		.amdhsa_exception_fp_ieee_overflow 0
		.amdhsa_exception_fp_ieee_underflow 0
		.amdhsa_exception_fp_ieee_inexact 0
		.amdhsa_exception_int_div_zero 0
	.end_amdhsa_kernel
	.section	.text._Z16operation_kernelIiLj256ELj1EL23memory_operation_method2E9operationIL16kernel_operation5EiLj1ELj256EEEvPT_S5_T3_,"axG",@progbits,_Z16operation_kernelIiLj256ELj1EL23memory_operation_method2E9operationIL16kernel_operation5EiLj1ELj256EEEvPT_S5_T3_,comdat
.Lfunc_end108:
	.size	_Z16operation_kernelIiLj256ELj1EL23memory_operation_method2E9operationIL16kernel_operation5EiLj1ELj256EEEvPT_S5_T3_, .Lfunc_end108-_Z16operation_kernelIiLj256ELj1EL23memory_operation_method2E9operationIL16kernel_operation5EiLj1ELj256EEEvPT_S5_T3_
                                        ; -- End function
	.section	.AMDGPU.csdata,"",@progbits
; Kernel info:
; codeLenInByte = 140
; NumSgprs: 12
; NumVgprs: 5
; NumAgprs: 0
; TotalNumVgprs: 5
; ScratchSize: 0
; MemoryBound: 0
; FloatMode: 240
; IeeeMode: 1
; LDSByteSize: 0 bytes/workgroup (compile time only)
; SGPRBlocks: 1
; VGPRBlocks: 0
; NumSGPRsForWavesPerEU: 12
; NumVGPRsForWavesPerEU: 5
; AccumOffset: 8
; Occupancy: 8
; WaveLimiterHint : 0
; COMPUTE_PGM_RSRC2:SCRATCH_EN: 0
; COMPUTE_PGM_RSRC2:USER_SGPR: 6
; COMPUTE_PGM_RSRC2:TRAP_HANDLER: 0
; COMPUTE_PGM_RSRC2:TGID_X_EN: 1
; COMPUTE_PGM_RSRC2:TGID_Y_EN: 0
; COMPUTE_PGM_RSRC2:TGID_Z_EN: 0
; COMPUTE_PGM_RSRC2:TIDIG_COMP_CNT: 0
; COMPUTE_PGM_RSRC3_GFX90A:ACCUM_OFFSET: 1
; COMPUTE_PGM_RSRC3_GFX90A:TG_SPLIT: 0
	.section	.text._Z16operation_kernelIiLj256ELj2EL23memory_operation_method2E9operationIL16kernel_operation5EiLj2ELj256EEEvPT_S5_T3_,"axG",@progbits,_Z16operation_kernelIiLj256ELj2EL23memory_operation_method2E9operationIL16kernel_operation5EiLj2ELj256EEEvPT_S5_T3_,comdat
	.protected	_Z16operation_kernelIiLj256ELj2EL23memory_operation_method2E9operationIL16kernel_operation5EiLj2ELj256EEEvPT_S5_T3_ ; -- Begin function _Z16operation_kernelIiLj256ELj2EL23memory_operation_method2E9operationIL16kernel_operation5EiLj2ELj256EEEvPT_S5_T3_
	.globl	_Z16operation_kernelIiLj256ELj2EL23memory_operation_method2E9operationIL16kernel_operation5EiLj2ELj256EEEvPT_S5_T3_
	.p2align	8
	.type	_Z16operation_kernelIiLj256ELj2EL23memory_operation_method2E9operationIL16kernel_operation5EiLj2ELj256EEEvPT_S5_T3_,@function
_Z16operation_kernelIiLj256ELj2EL23memory_operation_method2E9operationIL16kernel_operation5EiLj2ELj256EEEvPT_S5_T3_: ; @_Z16operation_kernelIiLj256ELj2EL23memory_operation_method2E9operationIL16kernel_operation5EiLj2ELj256EEEvPT_S5_T3_
; %bb.0:
	s_load_dwordx4 s[0:3], s[4:5], 0x0
	s_load_dword s7, s[4:5], 0x24
	s_lshl_b32 s4, s6, 9
	s_mov_b32 s5, 0
	s_lshl_b64 s[4:5], s[4:5], 2
	s_waitcnt lgkmcnt(0)
	s_add_u32 s0, s0, s4
	s_addc_u32 s1, s1, s5
	v_lshlrev_b32_e32 v4, 3, v0
	global_load_dwordx2 v[2:3], v4, s[0:1]
	s_and_b32 s0, s7, 0xffff
	s_mul_i32 s6, s6, s0
	v_and_b32_e32 v0, 63, v0
	v_add_lshl_u32 v0, s6, v0, 1
	v_mov_b32_e32 v1, 0
	v_lshlrev_b64 v[0:1], 2, v[0:1]
	v_mov_b32_e32 v5, s3
	v_add_co_u32_e32 v0, vcc, s2, v0
	v_addc_co_u32_e32 v1, vcc, v5, v1, vcc
	v_mov_b32_e32 v5, 0x29a
	global_atomic_add v[0:1], v5, off
	global_atomic_add v[0:1], v5, off offset:4
	s_add_u32 s0, s2, s4
	s_addc_u32 s1, s3, s5
	s_barrier
	s_waitcnt vmcnt(2)
	global_store_dwordx2 v4, v[2:3], s[0:1]
	s_endpgm
	.section	.rodata,"a",@progbits
	.p2align	6, 0x0
	.amdhsa_kernel _Z16operation_kernelIiLj256ELj2EL23memory_operation_method2E9operationIL16kernel_operation5EiLj2ELj256EEEvPT_S5_T3_
		.amdhsa_group_segment_fixed_size 0
		.amdhsa_private_segment_fixed_size 0
		.amdhsa_kernarg_size 280
		.amdhsa_user_sgpr_count 6
		.amdhsa_user_sgpr_private_segment_buffer 1
		.amdhsa_user_sgpr_dispatch_ptr 0
		.amdhsa_user_sgpr_queue_ptr 0
		.amdhsa_user_sgpr_kernarg_segment_ptr 1
		.amdhsa_user_sgpr_dispatch_id 0
		.amdhsa_user_sgpr_flat_scratch_init 0
		.amdhsa_user_sgpr_kernarg_preload_length 0
		.amdhsa_user_sgpr_kernarg_preload_offset 0
		.amdhsa_user_sgpr_private_segment_size 0
		.amdhsa_uses_dynamic_stack 0
		.amdhsa_system_sgpr_private_segment_wavefront_offset 0
		.amdhsa_system_sgpr_workgroup_id_x 1
		.amdhsa_system_sgpr_workgroup_id_y 0
		.amdhsa_system_sgpr_workgroup_id_z 0
		.amdhsa_system_sgpr_workgroup_info 0
		.amdhsa_system_vgpr_workitem_id 0
		.amdhsa_next_free_vgpr 6
		.amdhsa_next_free_sgpr 8
		.amdhsa_accum_offset 8
		.amdhsa_reserve_vcc 1
		.amdhsa_reserve_flat_scratch 0
		.amdhsa_float_round_mode_32 0
		.amdhsa_float_round_mode_16_64 0
		.amdhsa_float_denorm_mode_32 3
		.amdhsa_float_denorm_mode_16_64 3
		.amdhsa_dx10_clamp 1
		.amdhsa_ieee_mode 1
		.amdhsa_fp16_overflow 0
		.amdhsa_tg_split 0
		.amdhsa_exception_fp_ieee_invalid_op 0
		.amdhsa_exception_fp_denorm_src 0
		.amdhsa_exception_fp_ieee_div_zero 0
		.amdhsa_exception_fp_ieee_overflow 0
		.amdhsa_exception_fp_ieee_underflow 0
		.amdhsa_exception_fp_ieee_inexact 0
		.amdhsa_exception_int_div_zero 0
	.end_amdhsa_kernel
	.section	.text._Z16operation_kernelIiLj256ELj2EL23memory_operation_method2E9operationIL16kernel_operation5EiLj2ELj256EEEvPT_S5_T3_,"axG",@progbits,_Z16operation_kernelIiLj256ELj2EL23memory_operation_method2E9operationIL16kernel_operation5EiLj2ELj256EEEvPT_S5_T3_,comdat
.Lfunc_end109:
	.size	_Z16operation_kernelIiLj256ELj2EL23memory_operation_method2E9operationIL16kernel_operation5EiLj2ELj256EEEvPT_S5_T3_, .Lfunc_end109-_Z16operation_kernelIiLj256ELj2EL23memory_operation_method2E9operationIL16kernel_operation5EiLj2ELj256EEEvPT_S5_T3_
                                        ; -- End function
	.section	.AMDGPU.csdata,"",@progbits
; Kernel info:
; codeLenInByte = 152
; NumSgprs: 12
; NumVgprs: 6
; NumAgprs: 0
; TotalNumVgprs: 6
; ScratchSize: 0
; MemoryBound: 0
; FloatMode: 240
; IeeeMode: 1
; LDSByteSize: 0 bytes/workgroup (compile time only)
; SGPRBlocks: 1
; VGPRBlocks: 0
; NumSGPRsForWavesPerEU: 12
; NumVGPRsForWavesPerEU: 6
; AccumOffset: 8
; Occupancy: 8
; WaveLimiterHint : 0
; COMPUTE_PGM_RSRC2:SCRATCH_EN: 0
; COMPUTE_PGM_RSRC2:USER_SGPR: 6
; COMPUTE_PGM_RSRC2:TRAP_HANDLER: 0
; COMPUTE_PGM_RSRC2:TGID_X_EN: 1
; COMPUTE_PGM_RSRC2:TGID_Y_EN: 0
; COMPUTE_PGM_RSRC2:TGID_Z_EN: 0
; COMPUTE_PGM_RSRC2:TIDIG_COMP_CNT: 0
; COMPUTE_PGM_RSRC3_GFX90A:ACCUM_OFFSET: 1
; COMPUTE_PGM_RSRC3_GFX90A:TG_SPLIT: 0
	.section	.text._Z16operation_kernelIiLj256ELj4EL23memory_operation_method2E9operationIL16kernel_operation5EiLj4ELj256EEEvPT_S5_T3_,"axG",@progbits,_Z16operation_kernelIiLj256ELj4EL23memory_operation_method2E9operationIL16kernel_operation5EiLj4ELj256EEEvPT_S5_T3_,comdat
	.protected	_Z16operation_kernelIiLj256ELj4EL23memory_operation_method2E9operationIL16kernel_operation5EiLj4ELj256EEEvPT_S5_T3_ ; -- Begin function _Z16operation_kernelIiLj256ELj4EL23memory_operation_method2E9operationIL16kernel_operation5EiLj4ELj256EEEvPT_S5_T3_
	.globl	_Z16operation_kernelIiLj256ELj4EL23memory_operation_method2E9operationIL16kernel_operation5EiLj4ELj256EEEvPT_S5_T3_
	.p2align	8
	.type	_Z16operation_kernelIiLj256ELj4EL23memory_operation_method2E9operationIL16kernel_operation5EiLj4ELj256EEEvPT_S5_T3_,@function
_Z16operation_kernelIiLj256ELj4EL23memory_operation_method2E9operationIL16kernel_operation5EiLj4ELj256EEEvPT_S5_T3_: ; @_Z16operation_kernelIiLj256ELj4EL23memory_operation_method2E9operationIL16kernel_operation5EiLj4ELj256EEEvPT_S5_T3_
; %bb.0:
	s_load_dwordx4 s[0:3], s[4:5], 0x0
	s_load_dword s7, s[4:5], 0x24
	s_lshl_b32 s4, s6, 10
	s_mov_b32 s5, 0
	s_lshl_b64 s[4:5], s[4:5], 2
	s_waitcnt lgkmcnt(0)
	s_add_u32 s0, s0, s4
	s_addc_u32 s1, s1, s5
	s_and_b32 s7, s7, 0xffff
	v_lshlrev_b32_e32 v6, 4, v0
	s_mul_i32 s6, s6, s7
	v_and_b32_e32 v0, 63, v0
	v_add_lshl_u32 v0, s6, v0, 2
	v_mov_b32_e32 v1, 0
	v_lshlrev_b64 v[0:1], 2, v[0:1]
	v_mov_b32_e32 v2, s3
	v_add_co_u32_e32 v4, vcc, s2, v0
	v_addc_co_u32_e32 v5, vcc, v2, v1, vcc
	v_mov_b32_e32 v7, 0x29a
	global_load_dwordx4 v[0:3], v6, s[0:1]
	s_nop 0
	global_atomic_add v[4:5], v7, off
	global_atomic_add v[4:5], v7, off offset:4
	global_atomic_add v[4:5], v7, off offset:8
	;; [unrolled: 1-line block ×3, first 2 shown]
	s_add_u32 s0, s2, s4
	s_addc_u32 s1, s3, s5
	s_barrier
	s_waitcnt vmcnt(4)
	global_store_dwordx4 v6, v[0:3], s[0:1]
	s_endpgm
	.section	.rodata,"a",@progbits
	.p2align	6, 0x0
	.amdhsa_kernel _Z16operation_kernelIiLj256ELj4EL23memory_operation_method2E9operationIL16kernel_operation5EiLj4ELj256EEEvPT_S5_T3_
		.amdhsa_group_segment_fixed_size 0
		.amdhsa_private_segment_fixed_size 0
		.amdhsa_kernarg_size 280
		.amdhsa_user_sgpr_count 6
		.amdhsa_user_sgpr_private_segment_buffer 1
		.amdhsa_user_sgpr_dispatch_ptr 0
		.amdhsa_user_sgpr_queue_ptr 0
		.amdhsa_user_sgpr_kernarg_segment_ptr 1
		.amdhsa_user_sgpr_dispatch_id 0
		.amdhsa_user_sgpr_flat_scratch_init 0
		.amdhsa_user_sgpr_kernarg_preload_length 0
		.amdhsa_user_sgpr_kernarg_preload_offset 0
		.amdhsa_user_sgpr_private_segment_size 0
		.amdhsa_uses_dynamic_stack 0
		.amdhsa_system_sgpr_private_segment_wavefront_offset 0
		.amdhsa_system_sgpr_workgroup_id_x 1
		.amdhsa_system_sgpr_workgroup_id_y 0
		.amdhsa_system_sgpr_workgroup_id_z 0
		.amdhsa_system_sgpr_workgroup_info 0
		.amdhsa_system_vgpr_workitem_id 0
		.amdhsa_next_free_vgpr 8
		.amdhsa_next_free_sgpr 8
		.amdhsa_accum_offset 8
		.amdhsa_reserve_vcc 1
		.amdhsa_reserve_flat_scratch 0
		.amdhsa_float_round_mode_32 0
		.amdhsa_float_round_mode_16_64 0
		.amdhsa_float_denorm_mode_32 3
		.amdhsa_float_denorm_mode_16_64 3
		.amdhsa_dx10_clamp 1
		.amdhsa_ieee_mode 1
		.amdhsa_fp16_overflow 0
		.amdhsa_tg_split 0
		.amdhsa_exception_fp_ieee_invalid_op 0
		.amdhsa_exception_fp_denorm_src 0
		.amdhsa_exception_fp_ieee_div_zero 0
		.amdhsa_exception_fp_ieee_overflow 0
		.amdhsa_exception_fp_ieee_underflow 0
		.amdhsa_exception_fp_ieee_inexact 0
		.amdhsa_exception_int_div_zero 0
	.end_amdhsa_kernel
	.section	.text._Z16operation_kernelIiLj256ELj4EL23memory_operation_method2E9operationIL16kernel_operation5EiLj4ELj256EEEvPT_S5_T3_,"axG",@progbits,_Z16operation_kernelIiLj256ELj4EL23memory_operation_method2E9operationIL16kernel_operation5EiLj4ELj256EEEvPT_S5_T3_,comdat
.Lfunc_end110:
	.size	_Z16operation_kernelIiLj256ELj4EL23memory_operation_method2E9operationIL16kernel_operation5EiLj4ELj256EEEvPT_S5_T3_, .Lfunc_end110-_Z16operation_kernelIiLj256ELj4EL23memory_operation_method2E9operationIL16kernel_operation5EiLj4ELj256EEEvPT_S5_T3_
                                        ; -- End function
	.section	.AMDGPU.csdata,"",@progbits
; Kernel info:
; codeLenInByte = 172
; NumSgprs: 12
; NumVgprs: 8
; NumAgprs: 0
; TotalNumVgprs: 8
; ScratchSize: 0
; MemoryBound: 0
; FloatMode: 240
; IeeeMode: 1
; LDSByteSize: 0 bytes/workgroup (compile time only)
; SGPRBlocks: 1
; VGPRBlocks: 0
; NumSGPRsForWavesPerEU: 12
; NumVGPRsForWavesPerEU: 8
; AccumOffset: 8
; Occupancy: 8
; WaveLimiterHint : 0
; COMPUTE_PGM_RSRC2:SCRATCH_EN: 0
; COMPUTE_PGM_RSRC2:USER_SGPR: 6
; COMPUTE_PGM_RSRC2:TRAP_HANDLER: 0
; COMPUTE_PGM_RSRC2:TGID_X_EN: 1
; COMPUTE_PGM_RSRC2:TGID_Y_EN: 0
; COMPUTE_PGM_RSRC2:TGID_Z_EN: 0
; COMPUTE_PGM_RSRC2:TIDIG_COMP_CNT: 0
; COMPUTE_PGM_RSRC3_GFX90A:ACCUM_OFFSET: 1
; COMPUTE_PGM_RSRC3_GFX90A:TG_SPLIT: 0
	.section	.text._Z16operation_kernelIiLj256ELj8EL23memory_operation_method2E9operationIL16kernel_operation5EiLj8ELj256EEEvPT_S5_T3_,"axG",@progbits,_Z16operation_kernelIiLj256ELj8EL23memory_operation_method2E9operationIL16kernel_operation5EiLj8ELj256EEEvPT_S5_T3_,comdat
	.protected	_Z16operation_kernelIiLj256ELj8EL23memory_operation_method2E9operationIL16kernel_operation5EiLj8ELj256EEEvPT_S5_T3_ ; -- Begin function _Z16operation_kernelIiLj256ELj8EL23memory_operation_method2E9operationIL16kernel_operation5EiLj8ELj256EEEvPT_S5_T3_
	.globl	_Z16operation_kernelIiLj256ELj8EL23memory_operation_method2E9operationIL16kernel_operation5EiLj8ELj256EEEvPT_S5_T3_
	.p2align	8
	.type	_Z16operation_kernelIiLj256ELj8EL23memory_operation_method2E9operationIL16kernel_operation5EiLj8ELj256EEEvPT_S5_T3_,@function
_Z16operation_kernelIiLj256ELj8EL23memory_operation_method2E9operationIL16kernel_operation5EiLj8ELj256EEEvPT_S5_T3_: ; @_Z16operation_kernelIiLj256ELj8EL23memory_operation_method2E9operationIL16kernel_operation5EiLj8ELj256EEEvPT_S5_T3_
; %bb.0:
	s_load_dwordx4 s[0:3], s[4:5], 0x0
	s_load_dword s7, s[4:5], 0x24
	s_lshl_b32 s4, s6, 11
	s_mov_b32 s5, 0
	s_lshl_b64 s[4:5], s[4:5], 2
	s_waitcnt lgkmcnt(0)
	s_add_u32 s0, s0, s4
	s_addc_u32 s1, s1, s5
	s_and_b32 s7, s7, 0xffff
	v_lshlrev_b32_e32 v10, 5, v0
	s_mul_i32 s6, s6, s7
	v_and_b32_e32 v0, 63, v0
	v_add_lshl_u32 v0, s6, v0, 3
	v_mov_b32_e32 v1, 0
	v_lshlrev_b64 v[0:1], 2, v[0:1]
	v_mov_b32_e32 v2, s3
	v_add_co_u32_e32 v8, vcc, s2, v0
	v_addc_co_u32_e32 v9, vcc, v2, v1, vcc
	v_mov_b32_e32 v11, 0x29a
	global_load_dwordx4 v[0:3], v10, s[0:1] offset:16
	global_load_dwordx4 v[4:7], v10, s[0:1]
	s_nop 0
	global_atomic_add v[8:9], v11, off
	global_atomic_add v[8:9], v11, off offset:4
	global_atomic_add v[8:9], v11, off offset:8
	;; [unrolled: 1-line block ×7, first 2 shown]
	s_add_u32 s0, s2, s4
	s_addc_u32 s1, s3, s5
	s_barrier
	s_waitcnt vmcnt(8)
	global_store_dwordx4 v10, v[4:7], s[0:1]
	global_store_dwordx4 v10, v[0:3], s[0:1] offset:16
	s_endpgm
	.section	.rodata,"a",@progbits
	.p2align	6, 0x0
	.amdhsa_kernel _Z16operation_kernelIiLj256ELj8EL23memory_operation_method2E9operationIL16kernel_operation5EiLj8ELj256EEEvPT_S5_T3_
		.amdhsa_group_segment_fixed_size 0
		.amdhsa_private_segment_fixed_size 0
		.amdhsa_kernarg_size 280
		.amdhsa_user_sgpr_count 6
		.amdhsa_user_sgpr_private_segment_buffer 1
		.amdhsa_user_sgpr_dispatch_ptr 0
		.amdhsa_user_sgpr_queue_ptr 0
		.amdhsa_user_sgpr_kernarg_segment_ptr 1
		.amdhsa_user_sgpr_dispatch_id 0
		.amdhsa_user_sgpr_flat_scratch_init 0
		.amdhsa_user_sgpr_kernarg_preload_length 0
		.amdhsa_user_sgpr_kernarg_preload_offset 0
		.amdhsa_user_sgpr_private_segment_size 0
		.amdhsa_uses_dynamic_stack 0
		.amdhsa_system_sgpr_private_segment_wavefront_offset 0
		.amdhsa_system_sgpr_workgroup_id_x 1
		.amdhsa_system_sgpr_workgroup_id_y 0
		.amdhsa_system_sgpr_workgroup_id_z 0
		.amdhsa_system_sgpr_workgroup_info 0
		.amdhsa_system_vgpr_workitem_id 0
		.amdhsa_next_free_vgpr 12
		.amdhsa_next_free_sgpr 8
		.amdhsa_accum_offset 12
		.amdhsa_reserve_vcc 1
		.amdhsa_reserve_flat_scratch 0
		.amdhsa_float_round_mode_32 0
		.amdhsa_float_round_mode_16_64 0
		.amdhsa_float_denorm_mode_32 3
		.amdhsa_float_denorm_mode_16_64 3
		.amdhsa_dx10_clamp 1
		.amdhsa_ieee_mode 1
		.amdhsa_fp16_overflow 0
		.amdhsa_tg_split 0
		.amdhsa_exception_fp_ieee_invalid_op 0
		.amdhsa_exception_fp_denorm_src 0
		.amdhsa_exception_fp_ieee_div_zero 0
		.amdhsa_exception_fp_ieee_overflow 0
		.amdhsa_exception_fp_ieee_underflow 0
		.amdhsa_exception_fp_ieee_inexact 0
		.amdhsa_exception_int_div_zero 0
	.end_amdhsa_kernel
	.section	.text._Z16operation_kernelIiLj256ELj8EL23memory_operation_method2E9operationIL16kernel_operation5EiLj8ELj256EEEvPT_S5_T3_,"axG",@progbits,_Z16operation_kernelIiLj256ELj8EL23memory_operation_method2E9operationIL16kernel_operation5EiLj8ELj256EEEvPT_S5_T3_,comdat
.Lfunc_end111:
	.size	_Z16operation_kernelIiLj256ELj8EL23memory_operation_method2E9operationIL16kernel_operation5EiLj8ELj256EEEvPT_S5_T3_, .Lfunc_end111-_Z16operation_kernelIiLj256ELj8EL23memory_operation_method2E9operationIL16kernel_operation5EiLj8ELj256EEEvPT_S5_T3_
                                        ; -- End function
	.section	.AMDGPU.csdata,"",@progbits
; Kernel info:
; codeLenInByte = 220
; NumSgprs: 12
; NumVgprs: 12
; NumAgprs: 0
; TotalNumVgprs: 12
; ScratchSize: 0
; MemoryBound: 0
; FloatMode: 240
; IeeeMode: 1
; LDSByteSize: 0 bytes/workgroup (compile time only)
; SGPRBlocks: 1
; VGPRBlocks: 1
; NumSGPRsForWavesPerEU: 12
; NumVGPRsForWavesPerEU: 12
; AccumOffset: 12
; Occupancy: 8
; WaveLimiterHint : 0
; COMPUTE_PGM_RSRC2:SCRATCH_EN: 0
; COMPUTE_PGM_RSRC2:USER_SGPR: 6
; COMPUTE_PGM_RSRC2:TRAP_HANDLER: 0
; COMPUTE_PGM_RSRC2:TGID_X_EN: 1
; COMPUTE_PGM_RSRC2:TGID_Y_EN: 0
; COMPUTE_PGM_RSRC2:TGID_Z_EN: 0
; COMPUTE_PGM_RSRC2:TIDIG_COMP_CNT: 0
; COMPUTE_PGM_RSRC3_GFX90A:ACCUM_OFFSET: 2
; COMPUTE_PGM_RSRC3_GFX90A:TG_SPLIT: 0
	.section	.text._Z16operation_kernelIiLj256ELj1EL23memory_operation_method3E9operationIL16kernel_operation5EiLj1ELj256EEEvPT_S5_T3_,"axG",@progbits,_Z16operation_kernelIiLj256ELj1EL23memory_operation_method3E9operationIL16kernel_operation5EiLj1ELj256EEEvPT_S5_T3_,comdat
	.protected	_Z16operation_kernelIiLj256ELj1EL23memory_operation_method3E9operationIL16kernel_operation5EiLj1ELj256EEEvPT_S5_T3_ ; -- Begin function _Z16operation_kernelIiLj256ELj1EL23memory_operation_method3E9operationIL16kernel_operation5EiLj1ELj256EEEvPT_S5_T3_
	.globl	_Z16operation_kernelIiLj256ELj1EL23memory_operation_method3E9operationIL16kernel_operation5EiLj1ELj256EEEvPT_S5_T3_
	.p2align	8
	.type	_Z16operation_kernelIiLj256ELj1EL23memory_operation_method3E9operationIL16kernel_operation5EiLj1ELj256EEEvPT_S5_T3_,@function
_Z16operation_kernelIiLj256ELj1EL23memory_operation_method3E9operationIL16kernel_operation5EiLj1ELj256EEEvPT_S5_T3_: ; @_Z16operation_kernelIiLj256ELj1EL23memory_operation_method3E9operationIL16kernel_operation5EiLj1ELj256EEEvPT_S5_T3_
; %bb.0:
	s_load_dwordx4 s[0:3], s[4:5], 0x0
	s_load_dword s7, s[4:5], 0x24
	s_lshl_b32 s4, s6, 8
	s_mov_b32 s5, 0
	s_lshl_b64 s[4:5], s[4:5], 2
	s_waitcnt lgkmcnt(0)
	s_add_u32 s0, s0, s4
	s_addc_u32 s1, s1, s5
	v_lshlrev_b32_e32 v2, 2, v0
	global_load_dword v3, v2, s[0:1]
	s_and_b32 s0, s7, 0xffff
	v_and_b32_e32 v0, 63, v0
	s_mul_i32 s6, s6, s0
	v_mov_b32_e32 v1, 0
	v_add_u32_e32 v0, s6, v0
	v_lshlrev_b64 v[0:1], 2, v[0:1]
	v_mov_b32_e32 v5, s3
	v_add_co_u32_e32 v0, vcc, s2, v0
	v_mov_b32_e32 v4, 0x29a
	v_addc_co_u32_e32 v1, vcc, v5, v1, vcc
	s_add_u32 s0, s2, s4
	s_addc_u32 s1, s3, s5
	s_waitcnt vmcnt(0)
	ds_write_b32 v2, v3
	s_waitcnt lgkmcnt(0)
	s_barrier
	ds_read_b32 v3, v2
	global_atomic_add v[0:1], v4, off
	s_waitcnt lgkmcnt(0)
	s_barrier
	ds_write_b32 v2, v3
	s_waitcnt lgkmcnt(0)
	s_barrier
	ds_read_b32 v0, v2
	s_waitcnt lgkmcnt(0)
	global_store_dword v2, v0, s[0:1]
	s_endpgm
	.section	.rodata,"a",@progbits
	.p2align	6, 0x0
	.amdhsa_kernel _Z16operation_kernelIiLj256ELj1EL23memory_operation_method3E9operationIL16kernel_operation5EiLj1ELj256EEEvPT_S5_T3_
		.amdhsa_group_segment_fixed_size 1024
		.amdhsa_private_segment_fixed_size 0
		.amdhsa_kernarg_size 280
		.amdhsa_user_sgpr_count 6
		.amdhsa_user_sgpr_private_segment_buffer 1
		.amdhsa_user_sgpr_dispatch_ptr 0
		.amdhsa_user_sgpr_queue_ptr 0
		.amdhsa_user_sgpr_kernarg_segment_ptr 1
		.amdhsa_user_sgpr_dispatch_id 0
		.amdhsa_user_sgpr_flat_scratch_init 0
		.amdhsa_user_sgpr_kernarg_preload_length 0
		.amdhsa_user_sgpr_kernarg_preload_offset 0
		.amdhsa_user_sgpr_private_segment_size 0
		.amdhsa_uses_dynamic_stack 0
		.amdhsa_system_sgpr_private_segment_wavefront_offset 0
		.amdhsa_system_sgpr_workgroup_id_x 1
		.amdhsa_system_sgpr_workgroup_id_y 0
		.amdhsa_system_sgpr_workgroup_id_z 0
		.amdhsa_system_sgpr_workgroup_info 0
		.amdhsa_system_vgpr_workitem_id 0
		.amdhsa_next_free_vgpr 6
		.amdhsa_next_free_sgpr 8
		.amdhsa_accum_offset 8
		.amdhsa_reserve_vcc 1
		.amdhsa_reserve_flat_scratch 0
		.amdhsa_float_round_mode_32 0
		.amdhsa_float_round_mode_16_64 0
		.amdhsa_float_denorm_mode_32 3
		.amdhsa_float_denorm_mode_16_64 3
		.amdhsa_dx10_clamp 1
		.amdhsa_ieee_mode 1
		.amdhsa_fp16_overflow 0
		.amdhsa_tg_split 0
		.amdhsa_exception_fp_ieee_invalid_op 0
		.amdhsa_exception_fp_denorm_src 0
		.amdhsa_exception_fp_ieee_div_zero 0
		.amdhsa_exception_fp_ieee_overflow 0
		.amdhsa_exception_fp_ieee_underflow 0
		.amdhsa_exception_fp_ieee_inexact 0
		.amdhsa_exception_int_div_zero 0
	.end_amdhsa_kernel
	.section	.text._Z16operation_kernelIiLj256ELj1EL23memory_operation_method3E9operationIL16kernel_operation5EiLj1ELj256EEEvPT_S5_T3_,"axG",@progbits,_Z16operation_kernelIiLj256ELj1EL23memory_operation_method3E9operationIL16kernel_operation5EiLj1ELj256EEEvPT_S5_T3_,comdat
.Lfunc_end112:
	.size	_Z16operation_kernelIiLj256ELj1EL23memory_operation_method3E9operationIL16kernel_operation5EiLj1ELj256EEEvPT_S5_T3_, .Lfunc_end112-_Z16operation_kernelIiLj256ELj1EL23memory_operation_method3E9operationIL16kernel_operation5EiLj1ELj256EEEvPT_S5_T3_
                                        ; -- End function
	.section	.AMDGPU.csdata,"",@progbits
; Kernel info:
; codeLenInByte = 196
; NumSgprs: 12
; NumVgprs: 6
; NumAgprs: 0
; TotalNumVgprs: 6
; ScratchSize: 0
; MemoryBound: 0
; FloatMode: 240
; IeeeMode: 1
; LDSByteSize: 1024 bytes/workgroup (compile time only)
; SGPRBlocks: 1
; VGPRBlocks: 0
; NumSGPRsForWavesPerEU: 12
; NumVGPRsForWavesPerEU: 6
; AccumOffset: 8
; Occupancy: 8
; WaveLimiterHint : 0
; COMPUTE_PGM_RSRC2:SCRATCH_EN: 0
; COMPUTE_PGM_RSRC2:USER_SGPR: 6
; COMPUTE_PGM_RSRC2:TRAP_HANDLER: 0
; COMPUTE_PGM_RSRC2:TGID_X_EN: 1
; COMPUTE_PGM_RSRC2:TGID_Y_EN: 0
; COMPUTE_PGM_RSRC2:TGID_Z_EN: 0
; COMPUTE_PGM_RSRC2:TIDIG_COMP_CNT: 0
; COMPUTE_PGM_RSRC3_GFX90A:ACCUM_OFFSET: 1
; COMPUTE_PGM_RSRC3_GFX90A:TG_SPLIT: 0
	.section	.text._Z16operation_kernelIiLj256ELj2EL23memory_operation_method3E9operationIL16kernel_operation5EiLj2ELj256EEEvPT_S5_T3_,"axG",@progbits,_Z16operation_kernelIiLj256ELj2EL23memory_operation_method3E9operationIL16kernel_operation5EiLj2ELj256EEEvPT_S5_T3_,comdat
	.protected	_Z16operation_kernelIiLj256ELj2EL23memory_operation_method3E9operationIL16kernel_operation5EiLj2ELj256EEEvPT_S5_T3_ ; -- Begin function _Z16operation_kernelIiLj256ELj2EL23memory_operation_method3E9operationIL16kernel_operation5EiLj2ELj256EEEvPT_S5_T3_
	.globl	_Z16operation_kernelIiLj256ELj2EL23memory_operation_method3E9operationIL16kernel_operation5EiLj2ELj256EEEvPT_S5_T3_
	.p2align	8
	.type	_Z16operation_kernelIiLj256ELj2EL23memory_operation_method3E9operationIL16kernel_operation5EiLj2ELj256EEEvPT_S5_T3_,@function
_Z16operation_kernelIiLj256ELj2EL23memory_operation_method3E9operationIL16kernel_operation5EiLj2ELj256EEEvPT_S5_T3_: ; @_Z16operation_kernelIiLj256ELj2EL23memory_operation_method3E9operationIL16kernel_operation5EiLj2ELj256EEEvPT_S5_T3_
; %bb.0:
	s_load_dwordx4 s[0:3], s[4:5], 0x0
	s_load_dword s7, s[4:5], 0x24
	s_lshl_b32 s4, s6, 9
	s_mov_b32 s5, 0
	s_lshl_b64 s[4:5], s[4:5], 2
	s_waitcnt lgkmcnt(0)
	s_add_u32 s0, s0, s4
	s_addc_u32 s1, s1, s5
	v_lshlrev_b32_e32 v4, 2, v0
	global_load_dword v1, v4, s[0:1]
	global_load_dword v5, v4, s[0:1] offset:1024
	v_lshrrev_b32_e32 v2, 5, v0
	v_or_b32_e32 v7, 0x100, v0
	s_and_b32 s0, s7, 0xffff
	v_and_b32_e32 v8, 63, v0
	v_add_lshl_u32 v9, v2, v0, 2
	v_lshrrev_b32_e32 v2, 5, v7
	s_mul_i32 s6, s6, s0
	v_mov_b32_e32 v3, 0
	v_add_lshl_u32 v7, v2, v0, 2
	v_add_lshl_u32 v2, s6, v8, 1
	v_lshlrev_b64 v[2:3], 2, v[2:3]
	v_mov_b32_e32 v10, s3
	v_add_co_u32_e32 v2, vcc, s2, v2
	v_mov_b32_e32 v6, 0x29a
	v_addc_co_u32_e32 v3, vcc, v10, v3, vcc
	s_add_u32 s0, s2, s4
	s_addc_u32 s1, s3, s5
	s_waitcnt vmcnt(1)
	ds_write_b32 v9, v1
	s_waitcnt vmcnt(0)
	ds_write_b32 v7, v5 offset:1024
	s_waitcnt lgkmcnt(0)
	s_barrier
	global_atomic_add v[2:3], v6, off
	global_atomic_add v[2:3], v6, off offset:4
	v_lshlrev_b32_e32 v1, 1, v0
	v_lshrrev_b32_e32 v0, 4, v0
	v_add_lshl_u32 v2, v0, v1, 2
	ds_read2_b32 v[0:1], v2 offset1:1
	s_waitcnt lgkmcnt(0)
	s_barrier
	ds_write2_b32 v2, v0, v1 offset1:1
	s_waitcnt lgkmcnt(0)
	s_barrier
	ds_read_b32 v0, v9
	ds_read_b32 v1, v7 offset:1024
	s_waitcnt lgkmcnt(1)
	global_store_dword v4, v0, s[0:1]
	s_waitcnt lgkmcnt(0)
	global_store_dword v4, v1, s[0:1] offset:1024
	s_endpgm
	.section	.rodata,"a",@progbits
	.p2align	6, 0x0
	.amdhsa_kernel _Z16operation_kernelIiLj256ELj2EL23memory_operation_method3E9operationIL16kernel_operation5EiLj2ELj256EEEvPT_S5_T3_
		.amdhsa_group_segment_fixed_size 2112
		.amdhsa_private_segment_fixed_size 0
		.amdhsa_kernarg_size 280
		.amdhsa_user_sgpr_count 6
		.amdhsa_user_sgpr_private_segment_buffer 1
		.amdhsa_user_sgpr_dispatch_ptr 0
		.amdhsa_user_sgpr_queue_ptr 0
		.amdhsa_user_sgpr_kernarg_segment_ptr 1
		.amdhsa_user_sgpr_dispatch_id 0
		.amdhsa_user_sgpr_flat_scratch_init 0
		.amdhsa_user_sgpr_kernarg_preload_length 0
		.amdhsa_user_sgpr_kernarg_preload_offset 0
		.amdhsa_user_sgpr_private_segment_size 0
		.amdhsa_uses_dynamic_stack 0
		.amdhsa_system_sgpr_private_segment_wavefront_offset 0
		.amdhsa_system_sgpr_workgroup_id_x 1
		.amdhsa_system_sgpr_workgroup_id_y 0
		.amdhsa_system_sgpr_workgroup_id_z 0
		.amdhsa_system_sgpr_workgroup_info 0
		.amdhsa_system_vgpr_workitem_id 0
		.amdhsa_next_free_vgpr 11
		.amdhsa_next_free_sgpr 8
		.amdhsa_accum_offset 12
		.amdhsa_reserve_vcc 1
		.amdhsa_reserve_flat_scratch 0
		.amdhsa_float_round_mode_32 0
		.amdhsa_float_round_mode_16_64 0
		.amdhsa_float_denorm_mode_32 3
		.amdhsa_float_denorm_mode_16_64 3
		.amdhsa_dx10_clamp 1
		.amdhsa_ieee_mode 1
		.amdhsa_fp16_overflow 0
		.amdhsa_tg_split 0
		.amdhsa_exception_fp_ieee_invalid_op 0
		.amdhsa_exception_fp_denorm_src 0
		.amdhsa_exception_fp_ieee_div_zero 0
		.amdhsa_exception_fp_ieee_overflow 0
		.amdhsa_exception_fp_ieee_underflow 0
		.amdhsa_exception_fp_ieee_inexact 0
		.amdhsa_exception_int_div_zero 0
	.end_amdhsa_kernel
	.section	.text._Z16operation_kernelIiLj256ELj2EL23memory_operation_method3E9operationIL16kernel_operation5EiLj2ELj256EEEvPT_S5_T3_,"axG",@progbits,_Z16operation_kernelIiLj256ELj2EL23memory_operation_method3E9operationIL16kernel_operation5EiLj2ELj256EEEvPT_S5_T3_,comdat
.Lfunc_end113:
	.size	_Z16operation_kernelIiLj256ELj2EL23memory_operation_method3E9operationIL16kernel_operation5EiLj2ELj256EEEvPT_S5_T3_, .Lfunc_end113-_Z16operation_kernelIiLj256ELj2EL23memory_operation_method3E9operationIL16kernel_operation5EiLj2ELj256EEEvPT_S5_T3_
                                        ; -- End function
	.section	.AMDGPU.csdata,"",@progbits
; Kernel info:
; codeLenInByte = 296
; NumSgprs: 12
; NumVgprs: 11
; NumAgprs: 0
; TotalNumVgprs: 11
; ScratchSize: 0
; MemoryBound: 0
; FloatMode: 240
; IeeeMode: 1
; LDSByteSize: 2112 bytes/workgroup (compile time only)
; SGPRBlocks: 1
; VGPRBlocks: 1
; NumSGPRsForWavesPerEU: 12
; NumVGPRsForWavesPerEU: 11
; AccumOffset: 12
; Occupancy: 8
; WaveLimiterHint : 1
; COMPUTE_PGM_RSRC2:SCRATCH_EN: 0
; COMPUTE_PGM_RSRC2:USER_SGPR: 6
; COMPUTE_PGM_RSRC2:TRAP_HANDLER: 0
; COMPUTE_PGM_RSRC2:TGID_X_EN: 1
; COMPUTE_PGM_RSRC2:TGID_Y_EN: 0
; COMPUTE_PGM_RSRC2:TGID_Z_EN: 0
; COMPUTE_PGM_RSRC2:TIDIG_COMP_CNT: 0
; COMPUTE_PGM_RSRC3_GFX90A:ACCUM_OFFSET: 2
; COMPUTE_PGM_RSRC3_GFX90A:TG_SPLIT: 0
	.section	.text._Z16operation_kernelIiLj256ELj4EL23memory_operation_method3E9operationIL16kernel_operation5EiLj4ELj256EEEvPT_S5_T3_,"axG",@progbits,_Z16operation_kernelIiLj256ELj4EL23memory_operation_method3E9operationIL16kernel_operation5EiLj4ELj256EEEvPT_S5_T3_,comdat
	.protected	_Z16operation_kernelIiLj256ELj4EL23memory_operation_method3E9operationIL16kernel_operation5EiLj4ELj256EEEvPT_S5_T3_ ; -- Begin function _Z16operation_kernelIiLj256ELj4EL23memory_operation_method3E9operationIL16kernel_operation5EiLj4ELj256EEEvPT_S5_T3_
	.globl	_Z16operation_kernelIiLj256ELj4EL23memory_operation_method3E9operationIL16kernel_operation5EiLj4ELj256EEEvPT_S5_T3_
	.p2align	8
	.type	_Z16operation_kernelIiLj256ELj4EL23memory_operation_method3E9operationIL16kernel_operation5EiLj4ELj256EEEvPT_S5_T3_,@function
_Z16operation_kernelIiLj256ELj4EL23memory_operation_method3E9operationIL16kernel_operation5EiLj4ELj256EEEvPT_S5_T3_: ; @_Z16operation_kernelIiLj256ELj4EL23memory_operation_method3E9operationIL16kernel_operation5EiLj4ELj256EEEvPT_S5_T3_
; %bb.0:
	s_load_dwordx4 s[0:3], s[4:5], 0x0
	s_load_dword s7, s[4:5], 0x24
	s_lshl_b32 s4, s6, 10
	s_mov_b32 s5, 0
	s_lshl_b64 s[4:5], s[4:5], 2
	s_waitcnt lgkmcnt(0)
	s_add_u32 s0, s0, s4
	s_addc_u32 s1, s1, s5
	v_lshlrev_b32_e32 v6, 2, v0
	global_load_dword v2, v6, s[0:1]
	global_load_dword v3, v6, s[0:1] offset:1024
	global_load_dword v4, v6, s[0:1] offset:2048
	;; [unrolled: 1-line block ×3, first 2 shown]
	v_or_b32_e32 v9, 0x100, v0
	v_or_b32_e32 v10, 0x200, v0
	;; [unrolled: 1-line block ×3, first 2 shown]
	s_and_b32 s0, s7, 0xffff
	v_lshrrev_b32_e32 v8, 5, v0
	v_and_b32_e32 v13, 63, v0
	v_lshrrev_b32_e32 v9, 5, v9
	v_lshrrev_b32_e32 v10, 5, v10
	;; [unrolled: 1-line block ×3, first 2 shown]
	s_mul_i32 s6, s6, s0
	v_mov_b32_e32 v1, 0
	v_lshrrev_b32_e32 v12, 3, v0
	v_add_lshl_u32 v8, v8, v0, 2
	v_add_lshl_u32 v9, v9, v0, 2
	;; [unrolled: 1-line block ×5, first 2 shown]
	v_lshlrev_b64 v[0:1], 2, v[0:1]
	v_mov_b32_e32 v14, s3
	v_add_co_u32_e32 v0, vcc, s2, v0
	v_mov_b32_e32 v7, 0x29a
	v_add_lshl_u32 v12, v12, v6, 2
	v_addc_co_u32_e32 v1, vcc, v14, v1, vcc
	s_add_u32 s0, s2, s4
	s_addc_u32 s1, s3, s5
	s_waitcnt vmcnt(3)
	ds_write_b32 v8, v2
	s_waitcnt vmcnt(2)
	ds_write_b32 v9, v3 offset:1024
	s_waitcnt vmcnt(1)
	ds_write_b32 v10, v4 offset:2048
	;; [unrolled: 2-line block ×3, first 2 shown]
	s_waitcnt lgkmcnt(0)
	s_barrier
	ds_read2_b32 v[2:3], v12 offset1:1
	ds_read2_b32 v[4:5], v12 offset0:2 offset1:3
	global_atomic_add v[0:1], v7, off
	global_atomic_add v[0:1], v7, off offset:4
	global_atomic_add v[0:1], v7, off offset:8
	;; [unrolled: 1-line block ×3, first 2 shown]
	s_waitcnt lgkmcnt(0)
	s_barrier
	ds_write2_b32 v12, v2, v3 offset1:1
	ds_write2_b32 v12, v4, v5 offset0:2 offset1:3
	s_waitcnt lgkmcnt(0)
	s_barrier
	ds_read_b32 v0, v8
	ds_read_b32 v1, v9 offset:1024
	ds_read_b32 v2, v10 offset:2048
	;; [unrolled: 1-line block ×3, first 2 shown]
	s_waitcnt lgkmcnt(3)
	global_store_dword v6, v0, s[0:1]
	s_waitcnt lgkmcnt(2)
	global_store_dword v6, v1, s[0:1] offset:1024
	s_waitcnt lgkmcnt(1)
	global_store_dword v6, v2, s[0:1] offset:2048
	;; [unrolled: 2-line block ×3, first 2 shown]
	s_endpgm
	.section	.rodata,"a",@progbits
	.p2align	6, 0x0
	.amdhsa_kernel _Z16operation_kernelIiLj256ELj4EL23memory_operation_method3E9operationIL16kernel_operation5EiLj4ELj256EEEvPT_S5_T3_
		.amdhsa_group_segment_fixed_size 4224
		.amdhsa_private_segment_fixed_size 0
		.amdhsa_kernarg_size 280
		.amdhsa_user_sgpr_count 6
		.amdhsa_user_sgpr_private_segment_buffer 1
		.amdhsa_user_sgpr_dispatch_ptr 0
		.amdhsa_user_sgpr_queue_ptr 0
		.amdhsa_user_sgpr_kernarg_segment_ptr 1
		.amdhsa_user_sgpr_dispatch_id 0
		.amdhsa_user_sgpr_flat_scratch_init 0
		.amdhsa_user_sgpr_kernarg_preload_length 0
		.amdhsa_user_sgpr_kernarg_preload_offset 0
		.amdhsa_user_sgpr_private_segment_size 0
		.amdhsa_uses_dynamic_stack 0
		.amdhsa_system_sgpr_private_segment_wavefront_offset 0
		.amdhsa_system_sgpr_workgroup_id_x 1
		.amdhsa_system_sgpr_workgroup_id_y 0
		.amdhsa_system_sgpr_workgroup_id_z 0
		.amdhsa_system_sgpr_workgroup_info 0
		.amdhsa_system_vgpr_workitem_id 0
		.amdhsa_next_free_vgpr 15
		.amdhsa_next_free_sgpr 8
		.amdhsa_accum_offset 16
		.amdhsa_reserve_vcc 1
		.amdhsa_reserve_flat_scratch 0
		.amdhsa_float_round_mode_32 0
		.amdhsa_float_round_mode_16_64 0
		.amdhsa_float_denorm_mode_32 3
		.amdhsa_float_denorm_mode_16_64 3
		.amdhsa_dx10_clamp 1
		.amdhsa_ieee_mode 1
		.amdhsa_fp16_overflow 0
		.amdhsa_tg_split 0
		.amdhsa_exception_fp_ieee_invalid_op 0
		.amdhsa_exception_fp_denorm_src 0
		.amdhsa_exception_fp_ieee_div_zero 0
		.amdhsa_exception_fp_ieee_overflow 0
		.amdhsa_exception_fp_ieee_underflow 0
		.amdhsa_exception_fp_ieee_inexact 0
		.amdhsa_exception_int_div_zero 0
	.end_amdhsa_kernel
	.section	.text._Z16operation_kernelIiLj256ELj4EL23memory_operation_method3E9operationIL16kernel_operation5EiLj4ELj256EEEvPT_S5_T3_,"axG",@progbits,_Z16operation_kernelIiLj256ELj4EL23memory_operation_method3E9operationIL16kernel_operation5EiLj4ELj256EEEvPT_S5_T3_,comdat
.Lfunc_end114:
	.size	_Z16operation_kernelIiLj256ELj4EL23memory_operation_method3E9operationIL16kernel_operation5EiLj4ELj256EEEvPT_S5_T3_, .Lfunc_end114-_Z16operation_kernelIiLj256ELj4EL23memory_operation_method3E9operationIL16kernel_operation5EiLj4ELj256EEEvPT_S5_T3_
                                        ; -- End function
	.section	.AMDGPU.csdata,"",@progbits
; Kernel info:
; codeLenInByte = 444
; NumSgprs: 12
; NumVgprs: 15
; NumAgprs: 0
; TotalNumVgprs: 15
; ScratchSize: 0
; MemoryBound: 0
; FloatMode: 240
; IeeeMode: 1
; LDSByteSize: 4224 bytes/workgroup (compile time only)
; SGPRBlocks: 1
; VGPRBlocks: 1
; NumSGPRsForWavesPerEU: 12
; NumVGPRsForWavesPerEU: 15
; AccumOffset: 16
; Occupancy: 8
; WaveLimiterHint : 1
; COMPUTE_PGM_RSRC2:SCRATCH_EN: 0
; COMPUTE_PGM_RSRC2:USER_SGPR: 6
; COMPUTE_PGM_RSRC2:TRAP_HANDLER: 0
; COMPUTE_PGM_RSRC2:TGID_X_EN: 1
; COMPUTE_PGM_RSRC2:TGID_Y_EN: 0
; COMPUTE_PGM_RSRC2:TGID_Z_EN: 0
; COMPUTE_PGM_RSRC2:TIDIG_COMP_CNT: 0
; COMPUTE_PGM_RSRC3_GFX90A:ACCUM_OFFSET: 3
; COMPUTE_PGM_RSRC3_GFX90A:TG_SPLIT: 0
	.section	.text._Z16operation_kernelIiLj256ELj8EL23memory_operation_method3E9operationIL16kernel_operation5EiLj8ELj256EEEvPT_S5_T3_,"axG",@progbits,_Z16operation_kernelIiLj256ELj8EL23memory_operation_method3E9operationIL16kernel_operation5EiLj8ELj256EEEvPT_S5_T3_,comdat
	.protected	_Z16operation_kernelIiLj256ELj8EL23memory_operation_method3E9operationIL16kernel_operation5EiLj8ELj256EEEvPT_S5_T3_ ; -- Begin function _Z16operation_kernelIiLj256ELj8EL23memory_operation_method3E9operationIL16kernel_operation5EiLj8ELj256EEEvPT_S5_T3_
	.globl	_Z16operation_kernelIiLj256ELj8EL23memory_operation_method3E9operationIL16kernel_operation5EiLj8ELj256EEEvPT_S5_T3_
	.p2align	8
	.type	_Z16operation_kernelIiLj256ELj8EL23memory_operation_method3E9operationIL16kernel_operation5EiLj8ELj256EEEvPT_S5_T3_,@function
_Z16operation_kernelIiLj256ELj8EL23memory_operation_method3E9operationIL16kernel_operation5EiLj8ELj256EEEvPT_S5_T3_: ; @_Z16operation_kernelIiLj256ELj8EL23memory_operation_method3E9operationIL16kernel_operation5EiLj8ELj256EEEvPT_S5_T3_
; %bb.0:
	s_load_dwordx4 s[0:3], s[4:5], 0x0
	s_load_dword s7, s[4:5], 0x24
	s_lshl_b32 s4, s6, 11
	s_mov_b32 s5, 0
	s_lshl_b64 s[4:5], s[4:5], 2
	s_waitcnt lgkmcnt(0)
	s_add_u32 s0, s0, s4
	s_addc_u32 s1, s1, s5
	v_lshlrev_b32_e32 v10, 2, v0
	v_mov_b32_e32 v1, s1
	v_add_co_u32_e32 v2, vcc, s0, v10
	v_addc_co_u32_e32 v1, vcc, 0, v1, vcc
	s_movk_i32 s8, 0x1000
	v_add_co_u32_e32 v2, vcc, s8, v2
	v_addc_co_u32_e32 v3, vcc, 0, v1, vcc
	global_load_dword v4, v10, s[0:1]
	global_load_dword v5, v10, s[0:1] offset:1024
	global_load_dword v6, v10, s[0:1] offset:2048
	;; [unrolled: 1-line block ×3, first 2 shown]
	global_load_dword v8, v[2:3], off
	global_load_dword v9, v[2:3], off offset:1024
	global_load_dword v11, v[2:3], off offset:2048
	;; [unrolled: 1-line block ×3, first 2 shown]
	v_lshrrev_b32_e32 v2, 5, v0
	v_or_b32_e32 v3, 0x100, v0
	v_or_b32_e32 v14, 0x200, v0
	;; [unrolled: 1-line block ×7, first 2 shown]
	s_and_b32 s0, s7, 0xffff
	v_lshlrev_b32_e32 v20, 3, v0
	v_lshrrev_b32_e32 v21, 2, v0
	v_and_b32_e32 v22, 63, v0
	v_add_lshl_u32 v23, v2, v0, 2
	v_lshrrev_b32_e32 v2, 5, v3
	v_lshrrev_b32_e32 v3, 5, v14
	;; [unrolled: 1-line block ×7, first 2 shown]
	s_mul_i32 s6, s6, s0
	v_mov_b32_e32 v1, 0
	v_add_lshl_u32 v19, v21, v20, 2
	v_add_lshl_u32 v20, v2, v0, 2
	;; [unrolled: 1-line block ×9, first 2 shown]
	v_lshlrev_b64 v[0:1], 2, v[0:1]
	v_mov_b32_e32 v2, s3
	v_add_co_u32_e32 v0, vcc, s2, v0
	v_mov_b32_e32 v13, 0x29a
	v_addc_co_u32_e32 v1, vcc, v2, v1, vcc
	s_add_u32 s0, s2, s4
	s_addc_u32 s1, s3, s5
	s_waitcnt vmcnt(7)
	ds_write_b32 v23, v4
	s_waitcnt vmcnt(6)
	ds_write_b32 v20, v5 offset:1024
	s_waitcnt vmcnt(5)
	ds_write_b32 v21, v6 offset:2048
	;; [unrolled: 2-line block ×7, first 2 shown]
	s_waitcnt lgkmcnt(0)
	s_barrier
	ds_read2_b32 v[2:3], v19 offset1:1
	ds_read2_b32 v[4:5], v19 offset0:2 offset1:3
	ds_read2_b32 v[6:7], v19 offset0:4 offset1:5
	;; [unrolled: 1-line block ×3, first 2 shown]
	global_atomic_add v[0:1], v13, off
	global_atomic_add v[0:1], v13, off offset:4
	global_atomic_add v[0:1], v13, off offset:8
	;; [unrolled: 1-line block ×7, first 2 shown]
	s_waitcnt lgkmcnt(0)
	s_barrier
	ds_write2_b32 v19, v2, v3 offset1:1
	ds_write2_b32 v19, v4, v5 offset0:2 offset1:3
	ds_write2_b32 v19, v6, v7 offset0:4 offset1:5
	;; [unrolled: 1-line block ×3, first 2 shown]
	s_waitcnt lgkmcnt(0)
	s_barrier
	ds_read_b32 v0, v23
	ds_read_b32 v1, v20 offset:1024
	ds_read_b32 v2, v21 offset:2048
	;; [unrolled: 1-line block ×7, first 2 shown]
	v_mov_b32_e32 v8, s1
	v_add_co_u32_e32 v9, vcc, s0, v10
	v_addc_co_u32_e32 v8, vcc, 0, v8, vcc
	s_waitcnt lgkmcnt(7)
	global_store_dword v10, v0, s[0:1]
	s_waitcnt lgkmcnt(6)
	global_store_dword v10, v1, s[0:1] offset:1024
	s_waitcnt lgkmcnt(5)
	global_store_dword v10, v2, s[0:1] offset:2048
	;; [unrolled: 2-line block ×3, first 2 shown]
	v_add_co_u32_e32 v0, vcc, 0x1000, v9
	v_addc_co_u32_e32 v1, vcc, 0, v8, vcc
	s_waitcnt lgkmcnt(3)
	global_store_dword v[0:1], v4, off
	s_waitcnt lgkmcnt(2)
	global_store_dword v[0:1], v5, off offset:1024
	s_waitcnt lgkmcnt(1)
	global_store_dword v[0:1], v6, off offset:2048
	;; [unrolled: 2-line block ×3, first 2 shown]
	s_endpgm
	.section	.rodata,"a",@progbits
	.p2align	6, 0x0
	.amdhsa_kernel _Z16operation_kernelIiLj256ELj8EL23memory_operation_method3E9operationIL16kernel_operation5EiLj8ELj256EEEvPT_S5_T3_
		.amdhsa_group_segment_fixed_size 8448
		.amdhsa_private_segment_fixed_size 0
		.amdhsa_kernarg_size 280
		.amdhsa_user_sgpr_count 6
		.amdhsa_user_sgpr_private_segment_buffer 1
		.amdhsa_user_sgpr_dispatch_ptr 0
		.amdhsa_user_sgpr_queue_ptr 0
		.amdhsa_user_sgpr_kernarg_segment_ptr 1
		.amdhsa_user_sgpr_dispatch_id 0
		.amdhsa_user_sgpr_flat_scratch_init 0
		.amdhsa_user_sgpr_kernarg_preload_length 0
		.amdhsa_user_sgpr_kernarg_preload_offset 0
		.amdhsa_user_sgpr_private_segment_size 0
		.amdhsa_uses_dynamic_stack 0
		.amdhsa_system_sgpr_private_segment_wavefront_offset 0
		.amdhsa_system_sgpr_workgroup_id_x 1
		.amdhsa_system_sgpr_workgroup_id_y 0
		.amdhsa_system_sgpr_workgroup_id_z 0
		.amdhsa_system_sgpr_workgroup_info 0
		.amdhsa_system_vgpr_workitem_id 0
		.amdhsa_next_free_vgpr 24
		.amdhsa_next_free_sgpr 9
		.amdhsa_accum_offset 24
		.amdhsa_reserve_vcc 1
		.amdhsa_reserve_flat_scratch 0
		.amdhsa_float_round_mode_32 0
		.amdhsa_float_round_mode_16_64 0
		.amdhsa_float_denorm_mode_32 3
		.amdhsa_float_denorm_mode_16_64 3
		.amdhsa_dx10_clamp 1
		.amdhsa_ieee_mode 1
		.amdhsa_fp16_overflow 0
		.amdhsa_tg_split 0
		.amdhsa_exception_fp_ieee_invalid_op 0
		.amdhsa_exception_fp_denorm_src 0
		.amdhsa_exception_fp_ieee_div_zero 0
		.amdhsa_exception_fp_ieee_overflow 0
		.amdhsa_exception_fp_ieee_underflow 0
		.amdhsa_exception_fp_ieee_inexact 0
		.amdhsa_exception_int_div_zero 0
	.end_amdhsa_kernel
	.section	.text._Z16operation_kernelIiLj256ELj8EL23memory_operation_method3E9operationIL16kernel_operation5EiLj8ELj256EEEvPT_S5_T3_,"axG",@progbits,_Z16operation_kernelIiLj256ELj8EL23memory_operation_method3E9operationIL16kernel_operation5EiLj8ELj256EEEvPT_S5_T3_,comdat
.Lfunc_end115:
	.size	_Z16operation_kernelIiLj256ELj8EL23memory_operation_method3E9operationIL16kernel_operation5EiLj8ELj256EEEvPT_S5_T3_, .Lfunc_end115-_Z16operation_kernelIiLj256ELj8EL23memory_operation_method3E9operationIL16kernel_operation5EiLj8ELj256EEEvPT_S5_T3_
                                        ; -- End function
	.section	.AMDGPU.csdata,"",@progbits
; Kernel info:
; codeLenInByte = 800
; NumSgprs: 13
; NumVgprs: 24
; NumAgprs: 0
; TotalNumVgprs: 24
; ScratchSize: 0
; MemoryBound: 0
; FloatMode: 240
; IeeeMode: 1
; LDSByteSize: 8448 bytes/workgroup (compile time only)
; SGPRBlocks: 1
; VGPRBlocks: 2
; NumSGPRsForWavesPerEU: 13
; NumVGPRsForWavesPerEU: 24
; AccumOffset: 24
; Occupancy: 7
; WaveLimiterHint : 1
; COMPUTE_PGM_RSRC2:SCRATCH_EN: 0
; COMPUTE_PGM_RSRC2:USER_SGPR: 6
; COMPUTE_PGM_RSRC2:TRAP_HANDLER: 0
; COMPUTE_PGM_RSRC2:TGID_X_EN: 1
; COMPUTE_PGM_RSRC2:TGID_Y_EN: 0
; COMPUTE_PGM_RSRC2:TGID_Z_EN: 0
; COMPUTE_PGM_RSRC2:TIDIG_COMP_CNT: 0
; COMPUTE_PGM_RSRC3_GFX90A:ACCUM_OFFSET: 5
; COMPUTE_PGM_RSRC3_GFX90A:TG_SPLIT: 0
	.section	.text._Z16operation_kernelIiLj256ELj1EL23memory_operation_method4E9operationIL16kernel_operation5EiLj1ELj256EEEvPT_S5_T3_,"axG",@progbits,_Z16operation_kernelIiLj256ELj1EL23memory_operation_method4E9operationIL16kernel_operation5EiLj1ELj256EEEvPT_S5_T3_,comdat
	.protected	_Z16operation_kernelIiLj256ELj1EL23memory_operation_method4E9operationIL16kernel_operation5EiLj1ELj256EEEvPT_S5_T3_ ; -- Begin function _Z16operation_kernelIiLj256ELj1EL23memory_operation_method4E9operationIL16kernel_operation5EiLj1ELj256EEEvPT_S5_T3_
	.globl	_Z16operation_kernelIiLj256ELj1EL23memory_operation_method4E9operationIL16kernel_operation5EiLj1ELj256EEEvPT_S5_T3_
	.p2align	8
	.type	_Z16operation_kernelIiLj256ELj1EL23memory_operation_method4E9operationIL16kernel_operation5EiLj1ELj256EEEvPT_S5_T3_,@function
_Z16operation_kernelIiLj256ELj1EL23memory_operation_method4E9operationIL16kernel_operation5EiLj1ELj256EEEvPT_S5_T3_: ; @_Z16operation_kernelIiLj256ELj1EL23memory_operation_method4E9operationIL16kernel_operation5EiLj1ELj256EEEvPT_S5_T3_
; %bb.0:
	s_load_dwordx4 s[0:3], s[4:5], 0x0
	s_load_dword s7, s[4:5], 0x24
	s_lshl_b32 s4, s6, 8
	s_mov_b32 s5, 0
	s_lshl_b64 s[4:5], s[4:5], 2
	v_mbcnt_lo_u32_b32 v1, -1, 0
	s_waitcnt lgkmcnt(0)
	s_add_u32 s0, s0, s4
	v_mbcnt_hi_u32_b32 v4, -1, v1
	s_addc_u32 s1, s1, s5
	v_lshlrev_b32_e32 v6, 2, v4
	v_and_b32_e32 v5, 0xc0, v0
	v_mov_b32_e32 v1, s1
	v_add_co_u32_e32 v2, vcc, s0, v6
	v_addc_co_u32_e32 v1, vcc, 0, v1, vcc
	v_lshlrev_b32_e32 v7, 2, v5
	v_add_co_u32_e32 v2, vcc, v2, v7
	v_addc_co_u32_e32 v3, vcc, 0, v1, vcc
	global_load_dword v2, v[2:3], off
	s_and_b32 s0, s7, 0xffff
	v_and_b32_e32 v0, 63, v0
	s_mul_i32 s6, s6, s0
	v_mov_b32_e32 v1, 0
	v_add_u32_e32 v0, s6, v0
	v_lshlrev_b64 v[0:1], 2, v[0:1]
	v_add_lshl_u32 v4, v4, v5, 2
	v_mov_b32_e32 v5, s3
	v_add_co_u32_e32 v0, vcc, s2, v0
	v_mov_b32_e32 v3, 0x29a
	v_addc_co_u32_e32 v1, vcc, v5, v1, vcc
	s_add_u32 s0, s2, s4
	s_addc_u32 s1, s3, s5
	s_waitcnt vmcnt(0)
	ds_write_b32 v4, v2
	; wave barrier
	ds_read_b32 v2, v4
	global_atomic_add v[0:1], v3, off
	s_waitcnt lgkmcnt(0)
	s_barrier
	ds_write_b32 v4, v2
	; wave barrier
	ds_read_b32 v2, v4
	v_mov_b32_e32 v0, s1
	v_add_co_u32_e32 v1, vcc, s0, v6
	v_addc_co_u32_e32 v3, vcc, 0, v0, vcc
	v_add_co_u32_e32 v0, vcc, v1, v7
	v_addc_co_u32_e32 v1, vcc, 0, v3, vcc
	s_waitcnt lgkmcnt(0)
	global_store_dword v[0:1], v2, off
	s_endpgm
	.section	.rodata,"a",@progbits
	.p2align	6, 0x0
	.amdhsa_kernel _Z16operation_kernelIiLj256ELj1EL23memory_operation_method4E9operationIL16kernel_operation5EiLj1ELj256EEEvPT_S5_T3_
		.amdhsa_group_segment_fixed_size 1024
		.amdhsa_private_segment_fixed_size 0
		.amdhsa_kernarg_size 280
		.amdhsa_user_sgpr_count 6
		.amdhsa_user_sgpr_private_segment_buffer 1
		.amdhsa_user_sgpr_dispatch_ptr 0
		.amdhsa_user_sgpr_queue_ptr 0
		.amdhsa_user_sgpr_kernarg_segment_ptr 1
		.amdhsa_user_sgpr_dispatch_id 0
		.amdhsa_user_sgpr_flat_scratch_init 0
		.amdhsa_user_sgpr_kernarg_preload_length 0
		.amdhsa_user_sgpr_kernarg_preload_offset 0
		.amdhsa_user_sgpr_private_segment_size 0
		.amdhsa_uses_dynamic_stack 0
		.amdhsa_system_sgpr_private_segment_wavefront_offset 0
		.amdhsa_system_sgpr_workgroup_id_x 1
		.amdhsa_system_sgpr_workgroup_id_y 0
		.amdhsa_system_sgpr_workgroup_id_z 0
		.amdhsa_system_sgpr_workgroup_info 0
		.amdhsa_system_vgpr_workitem_id 0
		.amdhsa_next_free_vgpr 8
		.amdhsa_next_free_sgpr 8
		.amdhsa_accum_offset 8
		.amdhsa_reserve_vcc 1
		.amdhsa_reserve_flat_scratch 0
		.amdhsa_float_round_mode_32 0
		.amdhsa_float_round_mode_16_64 0
		.amdhsa_float_denorm_mode_32 3
		.amdhsa_float_denorm_mode_16_64 3
		.amdhsa_dx10_clamp 1
		.amdhsa_ieee_mode 1
		.amdhsa_fp16_overflow 0
		.amdhsa_tg_split 0
		.amdhsa_exception_fp_ieee_invalid_op 0
		.amdhsa_exception_fp_denorm_src 0
		.amdhsa_exception_fp_ieee_div_zero 0
		.amdhsa_exception_fp_ieee_overflow 0
		.amdhsa_exception_fp_ieee_underflow 0
		.amdhsa_exception_fp_ieee_inexact 0
		.amdhsa_exception_int_div_zero 0
	.end_amdhsa_kernel
	.section	.text._Z16operation_kernelIiLj256ELj1EL23memory_operation_method4E9operationIL16kernel_operation5EiLj1ELj256EEEvPT_S5_T3_,"axG",@progbits,_Z16operation_kernelIiLj256ELj1EL23memory_operation_method4E9operationIL16kernel_operation5EiLj1ELj256EEEvPT_S5_T3_,comdat
.Lfunc_end116:
	.size	_Z16operation_kernelIiLj256ELj1EL23memory_operation_method4E9operationIL16kernel_operation5EiLj1ELj256EEEvPT_S5_T3_, .Lfunc_end116-_Z16operation_kernelIiLj256ELj1EL23memory_operation_method4E9operationIL16kernel_operation5EiLj1ELj256EEEvPT_S5_T3_
                                        ; -- End function
	.section	.AMDGPU.csdata,"",@progbits
; Kernel info:
; codeLenInByte = 256
; NumSgprs: 12
; NumVgprs: 8
; NumAgprs: 0
; TotalNumVgprs: 8
; ScratchSize: 0
; MemoryBound: 0
; FloatMode: 240
; IeeeMode: 1
; LDSByteSize: 1024 bytes/workgroup (compile time only)
; SGPRBlocks: 1
; VGPRBlocks: 0
; NumSGPRsForWavesPerEU: 12
; NumVGPRsForWavesPerEU: 8
; AccumOffset: 8
; Occupancy: 8
; WaveLimiterHint : 0
; COMPUTE_PGM_RSRC2:SCRATCH_EN: 0
; COMPUTE_PGM_RSRC2:USER_SGPR: 6
; COMPUTE_PGM_RSRC2:TRAP_HANDLER: 0
; COMPUTE_PGM_RSRC2:TGID_X_EN: 1
; COMPUTE_PGM_RSRC2:TGID_Y_EN: 0
; COMPUTE_PGM_RSRC2:TGID_Z_EN: 0
; COMPUTE_PGM_RSRC2:TIDIG_COMP_CNT: 0
; COMPUTE_PGM_RSRC3_GFX90A:ACCUM_OFFSET: 1
; COMPUTE_PGM_RSRC3_GFX90A:TG_SPLIT: 0
	.section	.text._Z16operation_kernelIiLj256ELj2EL23memory_operation_method4E9operationIL16kernel_operation5EiLj2ELj256EEEvPT_S5_T3_,"axG",@progbits,_Z16operation_kernelIiLj256ELj2EL23memory_operation_method4E9operationIL16kernel_operation5EiLj2ELj256EEEvPT_S5_T3_,comdat
	.protected	_Z16operation_kernelIiLj256ELj2EL23memory_operation_method4E9operationIL16kernel_operation5EiLj2ELj256EEEvPT_S5_T3_ ; -- Begin function _Z16operation_kernelIiLj256ELj2EL23memory_operation_method4E9operationIL16kernel_operation5EiLj2ELj256EEEvPT_S5_T3_
	.globl	_Z16operation_kernelIiLj256ELj2EL23memory_operation_method4E9operationIL16kernel_operation5EiLj2ELj256EEEvPT_S5_T3_
	.p2align	8
	.type	_Z16operation_kernelIiLj256ELj2EL23memory_operation_method4E9operationIL16kernel_operation5EiLj2ELj256EEEvPT_S5_T3_,@function
_Z16operation_kernelIiLj256ELj2EL23memory_operation_method4E9operationIL16kernel_operation5EiLj2ELj256EEEvPT_S5_T3_: ; @_Z16operation_kernelIiLj256ELj2EL23memory_operation_method4E9operationIL16kernel_operation5EiLj2ELj256EEEvPT_S5_T3_
; %bb.0:
	s_load_dwordx4 s[0:3], s[4:5], 0x0
	s_load_dword s7, s[4:5], 0x24
	s_lshl_b32 s4, s6, 9
	s_mov_b32 s5, 0
	s_lshl_b64 s[4:5], s[4:5], 2
	v_mbcnt_lo_u32_b32 v1, -1, 0
	s_waitcnt lgkmcnt(0)
	s_add_u32 s0, s0, s4
	v_mbcnt_hi_u32_b32 v4, -1, v1
	s_addc_u32 s1, s1, s5
	v_lshlrev_b32_e32 v1, 1, v0
	v_lshlrev_b32_e32 v6, 2, v4
	v_and_b32_e32 v5, 0x180, v1
	v_mov_b32_e32 v1, s1
	v_add_co_u32_e32 v2, vcc, s0, v6
	v_addc_co_u32_e32 v1, vcc, 0, v1, vcc
	v_lshlrev_b32_e32 v7, 2, v5
	v_add_co_u32_e32 v2, vcc, v2, v7
	v_addc_co_u32_e32 v3, vcc, 0, v1, vcc
	global_load_dword v8, v[2:3], off
	global_load_dword v9, v[2:3], off offset:256
	v_and_b32_e32 v2, 0xc0, v0
	s_and_b32 s0, s7, 0xffff
	v_and_b32_e32 v0, 63, v0
	v_add_u32_e32 v2, v4, v2
	v_or_b32_e32 v3, v4, v5
	s_mul_i32 s6, s6, s0
	v_mov_b32_e32 v1, 0
	v_lshlrev_b32_e32 v4, 1, v2
	v_bfe_u32 v2, v2, 4, 27
	v_add_u32_e32 v11, 64, v3
	v_add_lshl_u32 v0, s6, v0, 1
	v_add_lshl_u32 v4, v2, v4, 2
	v_lshrrev_b32_e32 v2, 5, v11
	v_lshlrev_b64 v[0:1], 2, v[0:1]
	v_lshrrev_b32_e32 v5, 5, v3
	v_add_lshl_u32 v11, v2, v11, 2
	v_mov_b32_e32 v2, s3
	v_add_co_u32_e32 v0, vcc, s2, v0
	v_mov_b32_e32 v10, 0x29a
	v_add_lshl_u32 v5, v5, v3, 2
	v_addc_co_u32_e32 v1, vcc, v2, v1, vcc
	s_add_u32 s0, s2, s4
	s_addc_u32 s1, s3, s5
	s_waitcnt vmcnt(1)
	ds_write_b32 v5, v8
	s_waitcnt vmcnt(0)
	ds_write_b32 v11, v9
	; wave barrier
	ds_read2_b32 v[2:3], v4 offset1:1
	global_atomic_add v[0:1], v10, off
	global_atomic_add v[0:1], v10, off offset:4
	s_waitcnt lgkmcnt(0)
	s_barrier
	ds_write2_b32 v4, v2, v3 offset1:1
	; wave barrier
	ds_read_b32 v2, v5
	ds_read_b32 v3, v11
	v_mov_b32_e32 v0, s1
	v_add_co_u32_e32 v1, vcc, s0, v6
	v_addc_co_u32_e32 v4, vcc, 0, v0, vcc
	v_add_co_u32_e32 v0, vcc, v1, v7
	v_addc_co_u32_e32 v1, vcc, 0, v4, vcc
	s_waitcnt lgkmcnt(1)
	global_store_dword v[0:1], v2, off
	s_waitcnt lgkmcnt(0)
	global_store_dword v[0:1], v3, off offset:256
	s_endpgm
	.section	.rodata,"a",@progbits
	.p2align	6, 0x0
	.amdhsa_kernel _Z16operation_kernelIiLj256ELj2EL23memory_operation_method4E9operationIL16kernel_operation5EiLj2ELj256EEEvPT_S5_T3_
		.amdhsa_group_segment_fixed_size 2112
		.amdhsa_private_segment_fixed_size 0
		.amdhsa_kernarg_size 280
		.amdhsa_user_sgpr_count 6
		.amdhsa_user_sgpr_private_segment_buffer 1
		.amdhsa_user_sgpr_dispatch_ptr 0
		.amdhsa_user_sgpr_queue_ptr 0
		.amdhsa_user_sgpr_kernarg_segment_ptr 1
		.amdhsa_user_sgpr_dispatch_id 0
		.amdhsa_user_sgpr_flat_scratch_init 0
		.amdhsa_user_sgpr_kernarg_preload_length 0
		.amdhsa_user_sgpr_kernarg_preload_offset 0
		.amdhsa_user_sgpr_private_segment_size 0
		.amdhsa_uses_dynamic_stack 0
		.amdhsa_system_sgpr_private_segment_wavefront_offset 0
		.amdhsa_system_sgpr_workgroup_id_x 1
		.amdhsa_system_sgpr_workgroup_id_y 0
		.amdhsa_system_sgpr_workgroup_id_z 0
		.amdhsa_system_sgpr_workgroup_info 0
		.amdhsa_system_vgpr_workitem_id 0
		.amdhsa_next_free_vgpr 12
		.amdhsa_next_free_sgpr 8
		.amdhsa_accum_offset 12
		.amdhsa_reserve_vcc 1
		.amdhsa_reserve_flat_scratch 0
		.amdhsa_float_round_mode_32 0
		.amdhsa_float_round_mode_16_64 0
		.amdhsa_float_denorm_mode_32 3
		.amdhsa_float_denorm_mode_16_64 3
		.amdhsa_dx10_clamp 1
		.amdhsa_ieee_mode 1
		.amdhsa_fp16_overflow 0
		.amdhsa_tg_split 0
		.amdhsa_exception_fp_ieee_invalid_op 0
		.amdhsa_exception_fp_denorm_src 0
		.amdhsa_exception_fp_ieee_div_zero 0
		.amdhsa_exception_fp_ieee_overflow 0
		.amdhsa_exception_fp_ieee_underflow 0
		.amdhsa_exception_fp_ieee_inexact 0
		.amdhsa_exception_int_div_zero 0
	.end_amdhsa_kernel
	.section	.text._Z16operation_kernelIiLj256ELj2EL23memory_operation_method4E9operationIL16kernel_operation5EiLj2ELj256EEEvPT_S5_T3_,"axG",@progbits,_Z16operation_kernelIiLj256ELj2EL23memory_operation_method4E9operationIL16kernel_operation5EiLj2ELj256EEEvPT_S5_T3_,comdat
.Lfunc_end117:
	.size	_Z16operation_kernelIiLj256ELj2EL23memory_operation_method4E9operationIL16kernel_operation5EiLj2ELj256EEEvPT_S5_T3_, .Lfunc_end117-_Z16operation_kernelIiLj256ELj2EL23memory_operation_method4E9operationIL16kernel_operation5EiLj2ELj256EEEvPT_S5_T3_
                                        ; -- End function
	.section	.AMDGPU.csdata,"",@progbits
; Kernel info:
; codeLenInByte = 368
; NumSgprs: 12
; NumVgprs: 12
; NumAgprs: 0
; TotalNumVgprs: 12
; ScratchSize: 0
; MemoryBound: 0
; FloatMode: 240
; IeeeMode: 1
; LDSByteSize: 2112 bytes/workgroup (compile time only)
; SGPRBlocks: 1
; VGPRBlocks: 1
; NumSGPRsForWavesPerEU: 12
; NumVGPRsForWavesPerEU: 12
; AccumOffset: 12
; Occupancy: 8
; WaveLimiterHint : 1
; COMPUTE_PGM_RSRC2:SCRATCH_EN: 0
; COMPUTE_PGM_RSRC2:USER_SGPR: 6
; COMPUTE_PGM_RSRC2:TRAP_HANDLER: 0
; COMPUTE_PGM_RSRC2:TGID_X_EN: 1
; COMPUTE_PGM_RSRC2:TGID_Y_EN: 0
; COMPUTE_PGM_RSRC2:TGID_Z_EN: 0
; COMPUTE_PGM_RSRC2:TIDIG_COMP_CNT: 0
; COMPUTE_PGM_RSRC3_GFX90A:ACCUM_OFFSET: 2
; COMPUTE_PGM_RSRC3_GFX90A:TG_SPLIT: 0
	.section	.text._Z16operation_kernelIiLj256ELj4EL23memory_operation_method4E9operationIL16kernel_operation5EiLj4ELj256EEEvPT_S5_T3_,"axG",@progbits,_Z16operation_kernelIiLj256ELj4EL23memory_operation_method4E9operationIL16kernel_operation5EiLj4ELj256EEEvPT_S5_T3_,comdat
	.protected	_Z16operation_kernelIiLj256ELj4EL23memory_operation_method4E9operationIL16kernel_operation5EiLj4ELj256EEEvPT_S5_T3_ ; -- Begin function _Z16operation_kernelIiLj256ELj4EL23memory_operation_method4E9operationIL16kernel_operation5EiLj4ELj256EEEvPT_S5_T3_
	.globl	_Z16operation_kernelIiLj256ELj4EL23memory_operation_method4E9operationIL16kernel_operation5EiLj4ELj256EEEvPT_S5_T3_
	.p2align	8
	.type	_Z16operation_kernelIiLj256ELj4EL23memory_operation_method4E9operationIL16kernel_operation5EiLj4ELj256EEEvPT_S5_T3_,@function
_Z16operation_kernelIiLj256ELj4EL23memory_operation_method4E9operationIL16kernel_operation5EiLj4ELj256EEEvPT_S5_T3_: ; @_Z16operation_kernelIiLj256ELj4EL23memory_operation_method4E9operationIL16kernel_operation5EiLj4ELj256EEEvPT_S5_T3_
; %bb.0:
	s_load_dwordx4 s[0:3], s[4:5], 0x0
	s_load_dword s7, s[4:5], 0x24
	s_lshl_b32 s4, s6, 10
	s_mov_b32 s5, 0
	s_lshl_b64 s[4:5], s[4:5], 2
	v_mbcnt_lo_u32_b32 v1, -1, 0
	s_waitcnt lgkmcnt(0)
	s_add_u32 s0, s0, s4
	v_mbcnt_hi_u32_b32 v4, -1, v1
	s_addc_u32 s1, s1, s5
	v_lshlrev_b32_e32 v1, 2, v0
	v_lshlrev_b32_e32 v6, 2, v4
	v_and_b32_e32 v5, 0x300, v1
	v_mov_b32_e32 v1, s1
	v_add_co_u32_e32 v2, vcc, s0, v6
	v_addc_co_u32_e32 v1, vcc, 0, v1, vcc
	v_lshlrev_b32_e32 v7, 2, v5
	v_add_co_u32_e32 v2, vcc, v2, v7
	v_addc_co_u32_e32 v3, vcc, 0, v1, vcc
	global_load_dword v8, v[2:3], off
	global_load_dword v9, v[2:3], off offset:256
	global_load_dword v10, v[2:3], off offset:512
	;; [unrolled: 1-line block ×3, first 2 shown]
	v_and_b32_e32 v2, 0xc0, v0
	s_and_b32 s0, s7, 0xffff
	v_and_b32_e32 v0, 63, v0
	v_add_u32_e32 v2, v4, v2
	v_or_b32_e32 v3, v4, v5
	s_mul_i32 s6, s6, s0
	v_mov_b32_e32 v1, 0
	v_lshlrev_b32_e32 v4, 2, v2
	v_bfe_u32 v2, v2, 3, 27
	v_add_u32_e32 v13, 64, v3
	v_add_lshl_u32 v0, s6, v0, 2
	v_add_lshl_u32 v16, v2, v4, 2
	v_lshrrev_b32_e32 v2, 5, v13
	v_lshlrev_b64 v[0:1], 2, v[0:1]
	v_lshrrev_b32_e32 v5, 5, v3
	v_or_b32_e32 v14, 0x80, v3
	v_add_u32_e32 v15, 0xc0, v3
	v_add_lshl_u32 v13, v2, v13, 2
	v_mov_b32_e32 v2, s3
	v_add_co_u32_e32 v0, vcc, s2, v0
	v_mov_b32_e32 v12, 0x29a
	v_add_lshl_u32 v17, v5, v3, 2
	v_lshrrev_b32_e32 v3, 5, v14
	v_lshrrev_b32_e32 v4, 5, v15
	v_addc_co_u32_e32 v1, vcc, v2, v1, vcc
	v_add_lshl_u32 v14, v3, v14, 2
	v_add_lshl_u32 v15, v4, v15, 2
	s_add_u32 s0, s2, s4
	s_addc_u32 s1, s3, s5
	s_waitcnt vmcnt(3)
	ds_write_b32 v17, v8
	s_waitcnt vmcnt(2)
	ds_write_b32 v13, v9
	;; [unrolled: 2-line block ×4, first 2 shown]
	; wave barrier
	ds_read2_b32 v[2:3], v16 offset1:1
	ds_read2_b32 v[4:5], v16 offset0:2 offset1:3
	global_atomic_add v[0:1], v12, off
	global_atomic_add v[0:1], v12, off offset:4
	global_atomic_add v[0:1], v12, off offset:8
	;; [unrolled: 1-line block ×3, first 2 shown]
	s_waitcnt lgkmcnt(0)
	s_barrier
	ds_write2_b32 v16, v2, v3 offset1:1
	ds_write2_b32 v16, v4, v5 offset0:2 offset1:3
	; wave barrier
	ds_read_b32 v2, v17
	ds_read_b32 v3, v13
	;; [unrolled: 1-line block ×4, first 2 shown]
	v_mov_b32_e32 v0, s1
	v_add_co_u32_e32 v1, vcc, s0, v6
	v_addc_co_u32_e32 v6, vcc, 0, v0, vcc
	v_add_co_u32_e32 v0, vcc, v1, v7
	v_addc_co_u32_e32 v1, vcc, 0, v6, vcc
	s_waitcnt lgkmcnt(3)
	global_store_dword v[0:1], v2, off
	s_waitcnt lgkmcnt(2)
	global_store_dword v[0:1], v3, off offset:256
	s_waitcnt lgkmcnt(1)
	global_store_dword v[0:1], v4, off offset:512
	;; [unrolled: 2-line block ×3, first 2 shown]
	s_endpgm
	.section	.rodata,"a",@progbits
	.p2align	6, 0x0
	.amdhsa_kernel _Z16operation_kernelIiLj256ELj4EL23memory_operation_method4E9operationIL16kernel_operation5EiLj4ELj256EEEvPT_S5_T3_
		.amdhsa_group_segment_fixed_size 4224
		.amdhsa_private_segment_fixed_size 0
		.amdhsa_kernarg_size 280
		.amdhsa_user_sgpr_count 6
		.amdhsa_user_sgpr_private_segment_buffer 1
		.amdhsa_user_sgpr_dispatch_ptr 0
		.amdhsa_user_sgpr_queue_ptr 0
		.amdhsa_user_sgpr_kernarg_segment_ptr 1
		.amdhsa_user_sgpr_dispatch_id 0
		.amdhsa_user_sgpr_flat_scratch_init 0
		.amdhsa_user_sgpr_kernarg_preload_length 0
		.amdhsa_user_sgpr_kernarg_preload_offset 0
		.amdhsa_user_sgpr_private_segment_size 0
		.amdhsa_uses_dynamic_stack 0
		.amdhsa_system_sgpr_private_segment_wavefront_offset 0
		.amdhsa_system_sgpr_workgroup_id_x 1
		.amdhsa_system_sgpr_workgroup_id_y 0
		.amdhsa_system_sgpr_workgroup_id_z 0
		.amdhsa_system_sgpr_workgroup_info 0
		.amdhsa_system_vgpr_workitem_id 0
		.amdhsa_next_free_vgpr 18
		.amdhsa_next_free_sgpr 8
		.amdhsa_accum_offset 20
		.amdhsa_reserve_vcc 1
		.amdhsa_reserve_flat_scratch 0
		.amdhsa_float_round_mode_32 0
		.amdhsa_float_round_mode_16_64 0
		.amdhsa_float_denorm_mode_32 3
		.amdhsa_float_denorm_mode_16_64 3
		.amdhsa_dx10_clamp 1
		.amdhsa_ieee_mode 1
		.amdhsa_fp16_overflow 0
		.amdhsa_tg_split 0
		.amdhsa_exception_fp_ieee_invalid_op 0
		.amdhsa_exception_fp_denorm_src 0
		.amdhsa_exception_fp_ieee_div_zero 0
		.amdhsa_exception_fp_ieee_overflow 0
		.amdhsa_exception_fp_ieee_underflow 0
		.amdhsa_exception_fp_ieee_inexact 0
		.amdhsa_exception_int_div_zero 0
	.end_amdhsa_kernel
	.section	.text._Z16operation_kernelIiLj256ELj4EL23memory_operation_method4E9operationIL16kernel_operation5EiLj4ELj256EEEvPT_S5_T3_,"axG",@progbits,_Z16operation_kernelIiLj256ELj4EL23memory_operation_method4E9operationIL16kernel_operation5EiLj4ELj256EEEvPT_S5_T3_,comdat
.Lfunc_end118:
	.size	_Z16operation_kernelIiLj256ELj4EL23memory_operation_method4E9operationIL16kernel_operation5EiLj4ELj256EEEvPT_S5_T3_, .Lfunc_end118-_Z16operation_kernelIiLj256ELj4EL23memory_operation_method4E9operationIL16kernel_operation5EiLj4ELj256EEEvPT_S5_T3_
                                        ; -- End function
	.section	.AMDGPU.csdata,"",@progbits
; Kernel info:
; codeLenInByte = 520
; NumSgprs: 12
; NumVgprs: 18
; NumAgprs: 0
; TotalNumVgprs: 18
; ScratchSize: 0
; MemoryBound: 0
; FloatMode: 240
; IeeeMode: 1
; LDSByteSize: 4224 bytes/workgroup (compile time only)
; SGPRBlocks: 1
; VGPRBlocks: 2
; NumSGPRsForWavesPerEU: 12
; NumVGPRsForWavesPerEU: 18
; AccumOffset: 20
; Occupancy: 8
; WaveLimiterHint : 1
; COMPUTE_PGM_RSRC2:SCRATCH_EN: 0
; COMPUTE_PGM_RSRC2:USER_SGPR: 6
; COMPUTE_PGM_RSRC2:TRAP_HANDLER: 0
; COMPUTE_PGM_RSRC2:TGID_X_EN: 1
; COMPUTE_PGM_RSRC2:TGID_Y_EN: 0
; COMPUTE_PGM_RSRC2:TGID_Z_EN: 0
; COMPUTE_PGM_RSRC2:TIDIG_COMP_CNT: 0
; COMPUTE_PGM_RSRC3_GFX90A:ACCUM_OFFSET: 4
; COMPUTE_PGM_RSRC3_GFX90A:TG_SPLIT: 0
	.section	.text._Z16operation_kernelIiLj256ELj8EL23memory_operation_method4E9operationIL16kernel_operation5EiLj8ELj256EEEvPT_S5_T3_,"axG",@progbits,_Z16operation_kernelIiLj256ELj8EL23memory_operation_method4E9operationIL16kernel_operation5EiLj8ELj256EEEvPT_S5_T3_,comdat
	.protected	_Z16operation_kernelIiLj256ELj8EL23memory_operation_method4E9operationIL16kernel_operation5EiLj8ELj256EEEvPT_S5_T3_ ; -- Begin function _Z16operation_kernelIiLj256ELj8EL23memory_operation_method4E9operationIL16kernel_operation5EiLj8ELj256EEEvPT_S5_T3_
	.globl	_Z16operation_kernelIiLj256ELj8EL23memory_operation_method4E9operationIL16kernel_operation5EiLj8ELj256EEEvPT_S5_T3_
	.p2align	8
	.type	_Z16operation_kernelIiLj256ELj8EL23memory_operation_method4E9operationIL16kernel_operation5EiLj8ELj256EEEvPT_S5_T3_,@function
_Z16operation_kernelIiLj256ELj8EL23memory_operation_method4E9operationIL16kernel_operation5EiLj8ELj256EEEvPT_S5_T3_: ; @_Z16operation_kernelIiLj256ELj8EL23memory_operation_method4E9operationIL16kernel_operation5EiLj8ELj256EEEvPT_S5_T3_
; %bb.0:
	s_load_dwordx4 s[0:3], s[4:5], 0x0
	s_load_dword s7, s[4:5], 0x24
	s_lshl_b32 s4, s6, 11
	s_mov_b32 s5, 0
	s_lshl_b64 s[4:5], s[4:5], 2
	v_mbcnt_lo_u32_b32 v1, -1, 0
	s_waitcnt lgkmcnt(0)
	s_add_u32 s0, s0, s4
	v_mbcnt_hi_u32_b32 v4, -1, v1
	s_addc_u32 s1, s1, s5
	v_lshlrev_b32_e32 v1, 3, v0
	v_lshlrev_b32_e32 v10, 2, v4
	v_and_b32_e32 v5, 0x600, v1
	v_mov_b32_e32 v1, s1
	v_add_co_u32_e32 v2, vcc, s0, v10
	v_addc_co_u32_e32 v1, vcc, 0, v1, vcc
	v_lshlrev_b32_e32 v11, 2, v5
	v_add_co_u32_e32 v2, vcc, v2, v11
	v_addc_co_u32_e32 v3, vcc, 0, v1, vcc
	global_load_dword v6, v[2:3], off
	global_load_dword v7, v[2:3], off offset:256
	global_load_dword v8, v[2:3], off offset:512
	;; [unrolled: 1-line block ×7, first 2 shown]
	v_and_b32_e32 v2, 0xc0, v0
	s_and_b32 s0, s7, 0xffff
	v_and_b32_e32 v0, 63, v0
	v_add_u32_e32 v2, v4, v2
	v_or_b32_e32 v3, v4, v5
	s_mul_i32 s6, s6, s0
	v_mov_b32_e32 v1, 0
	v_lshlrev_b32_e32 v4, 3, v2
	v_bfe_u32 v2, v2, 2, 27
	v_add_u32_e32 v17, 64, v3
	v_add_lshl_u32 v0, s6, v0, 3
	v_add_lshl_u32 v24, v2, v4, 2
	v_lshrrev_b32_e32 v2, 5, v17
	v_lshlrev_b64 v[0:1], 2, v[0:1]
	v_lshrrev_b32_e32 v5, 5, v3
	v_or_b32_e32 v18, 0x80, v3
	v_add_u32_e32 v19, 0xc0, v3
	v_or_b32_e32 v20, 0x100, v3
	v_add_u32_e32 v21, 0x140, v3
	;; [unrolled: 2-line block ×3, first 2 shown]
	v_add_lshl_u32 v17, v2, v17, 2
	v_mov_b32_e32 v2, s3
	v_add_co_u32_e32 v0, vcc, s2, v0
	v_mov_b32_e32 v16, 0x29a
	v_add_lshl_u32 v25, v5, v3, 2
	v_lshrrev_b32_e32 v3, 5, v18
	v_lshrrev_b32_e32 v4, 5, v19
	;; [unrolled: 1-line block ×6, first 2 shown]
	v_addc_co_u32_e32 v1, vcc, v2, v1, vcc
	v_add_lshl_u32 v18, v3, v18, 2
	v_add_lshl_u32 v19, v4, v19, 2
	;; [unrolled: 1-line block ×6, first 2 shown]
	s_add_u32 s0, s2, s4
	s_addc_u32 s1, s3, s5
	s_waitcnt vmcnt(7)
	ds_write_b32 v25, v6
	s_waitcnt vmcnt(6)
	ds_write_b32 v17, v7
	;; [unrolled: 2-line block ×8, first 2 shown]
	; wave barrier
	ds_read2_b32 v[2:3], v24 offset1:1
	ds_read2_b32 v[4:5], v24 offset0:2 offset1:3
	ds_read2_b32 v[6:7], v24 offset0:4 offset1:5
	ds_read2_b32 v[8:9], v24 offset0:6 offset1:7
	global_atomic_add v[0:1], v16, off
	global_atomic_add v[0:1], v16, off offset:4
	global_atomic_add v[0:1], v16, off offset:8
	;; [unrolled: 1-line block ×7, first 2 shown]
	s_waitcnt lgkmcnt(0)
	s_barrier
	ds_write2_b32 v24, v2, v3 offset1:1
	ds_write2_b32 v24, v4, v5 offset0:2 offset1:3
	ds_write2_b32 v24, v6, v7 offset0:4 offset1:5
	;; [unrolled: 1-line block ×3, first 2 shown]
	; wave barrier
	ds_read_b32 v2, v25
	ds_read_b32 v3, v17
	;; [unrolled: 1-line block ×8, first 2 shown]
	v_mov_b32_e32 v0, s1
	v_add_co_u32_e32 v1, vcc, s0, v10
	v_addc_co_u32_e32 v10, vcc, 0, v0, vcc
	v_add_co_u32_e32 v0, vcc, v1, v11
	v_addc_co_u32_e32 v1, vcc, 0, v10, vcc
	s_waitcnt lgkmcnt(7)
	global_store_dword v[0:1], v2, off
	s_waitcnt lgkmcnt(6)
	global_store_dword v[0:1], v3, off offset:256
	s_waitcnt lgkmcnt(5)
	global_store_dword v[0:1], v4, off offset:512
	;; [unrolled: 2-line block ×7, first 2 shown]
	s_endpgm
	.section	.rodata,"a",@progbits
	.p2align	6, 0x0
	.amdhsa_kernel _Z16operation_kernelIiLj256ELj8EL23memory_operation_method4E9operationIL16kernel_operation5EiLj8ELj256EEEvPT_S5_T3_
		.amdhsa_group_segment_fixed_size 8448
		.amdhsa_private_segment_fixed_size 0
		.amdhsa_kernarg_size 280
		.amdhsa_user_sgpr_count 6
		.amdhsa_user_sgpr_private_segment_buffer 1
		.amdhsa_user_sgpr_dispatch_ptr 0
		.amdhsa_user_sgpr_queue_ptr 0
		.amdhsa_user_sgpr_kernarg_segment_ptr 1
		.amdhsa_user_sgpr_dispatch_id 0
		.amdhsa_user_sgpr_flat_scratch_init 0
		.amdhsa_user_sgpr_kernarg_preload_length 0
		.amdhsa_user_sgpr_kernarg_preload_offset 0
		.amdhsa_user_sgpr_private_segment_size 0
		.amdhsa_uses_dynamic_stack 0
		.amdhsa_system_sgpr_private_segment_wavefront_offset 0
		.amdhsa_system_sgpr_workgroup_id_x 1
		.amdhsa_system_sgpr_workgroup_id_y 0
		.amdhsa_system_sgpr_workgroup_id_z 0
		.amdhsa_system_sgpr_workgroup_info 0
		.amdhsa_system_vgpr_workitem_id 0
		.amdhsa_next_free_vgpr 29
		.amdhsa_next_free_sgpr 8
		.amdhsa_accum_offset 32
		.amdhsa_reserve_vcc 1
		.amdhsa_reserve_flat_scratch 0
		.amdhsa_float_round_mode_32 0
		.amdhsa_float_round_mode_16_64 0
		.amdhsa_float_denorm_mode_32 3
		.amdhsa_float_denorm_mode_16_64 3
		.amdhsa_dx10_clamp 1
		.amdhsa_ieee_mode 1
		.amdhsa_fp16_overflow 0
		.amdhsa_tg_split 0
		.amdhsa_exception_fp_ieee_invalid_op 0
		.amdhsa_exception_fp_denorm_src 0
		.amdhsa_exception_fp_ieee_div_zero 0
		.amdhsa_exception_fp_ieee_overflow 0
		.amdhsa_exception_fp_ieee_underflow 0
		.amdhsa_exception_fp_ieee_inexact 0
		.amdhsa_exception_int_div_zero 0
	.end_amdhsa_kernel
	.section	.text._Z16operation_kernelIiLj256ELj8EL23memory_operation_method4E9operationIL16kernel_operation5EiLj8ELj256EEEvPT_S5_T3_,"axG",@progbits,_Z16operation_kernelIiLj256ELj8EL23memory_operation_method4E9operationIL16kernel_operation5EiLj8ELj256EEEvPT_S5_T3_,comdat
.Lfunc_end119:
	.size	_Z16operation_kernelIiLj256ELj8EL23memory_operation_method4E9operationIL16kernel_operation5EiLj8ELj256EEEvPT_S5_T3_, .Lfunc_end119-_Z16operation_kernelIiLj256ELj8EL23memory_operation_method4E9operationIL16kernel_operation5EiLj8ELj256EEEvPT_S5_T3_
                                        ; -- End function
	.section	.AMDGPU.csdata,"",@progbits
; Kernel info:
; codeLenInByte = 824
; NumSgprs: 12
; NumVgprs: 29
; NumAgprs: 0
; TotalNumVgprs: 29
; ScratchSize: 0
; MemoryBound: 0
; FloatMode: 240
; IeeeMode: 1
; LDSByteSize: 8448 bytes/workgroup (compile time only)
; SGPRBlocks: 1
; VGPRBlocks: 3
; NumSGPRsForWavesPerEU: 12
; NumVGPRsForWavesPerEU: 29
; AccumOffset: 32
; Occupancy: 7
; WaveLimiterHint : 1
; COMPUTE_PGM_RSRC2:SCRATCH_EN: 0
; COMPUTE_PGM_RSRC2:USER_SGPR: 6
; COMPUTE_PGM_RSRC2:TRAP_HANDLER: 0
; COMPUTE_PGM_RSRC2:TGID_X_EN: 1
; COMPUTE_PGM_RSRC2:TGID_Y_EN: 0
; COMPUTE_PGM_RSRC2:TGID_Z_EN: 0
; COMPUTE_PGM_RSRC2:TIDIG_COMP_CNT: 0
; COMPUTE_PGM_RSRC3_GFX90A:ACCUM_OFFSET: 7
; COMPUTE_PGM_RSRC3_GFX90A:TG_SPLIT: 0
	.text
	.p2alignl 6, 3212836864
	.fill 256, 4, 3212836864
	.type	__hip_cuid_b33fc7bc6becd28a,@object ; @__hip_cuid_b33fc7bc6becd28a
	.section	.bss,"aw",@nobits
	.globl	__hip_cuid_b33fc7bc6becd28a
__hip_cuid_b33fc7bc6becd28a:
	.byte	0                               ; 0x0
	.size	__hip_cuid_b33fc7bc6becd28a, 1

	.ident	"AMD clang version 19.0.0git (https://github.com/RadeonOpenCompute/llvm-project roc-6.4.0 25133 c7fe45cf4b819c5991fe208aaa96edf142730f1d)"
	.section	".note.GNU-stack","",@progbits
	.addrsig
	.addrsig_sym __hip_cuid_b33fc7bc6becd28a
	.amdgpu_metadata
---
amdhsa.kernels:
  - .agpr_count:     0
    .args:
      - .address_space:  global
        .offset:         0
        .size:           8
        .value_kind:     global_buffer
      - .address_space:  global
        .offset:         8
        .size:           8
        .value_kind:     global_buffer
      - .offset:         16
        .size:           1
        .value_kind:     by_value
    .group_segment_fixed_size: 0
    .kernarg_segment_align: 8
    .kernarg_segment_size: 20
    .language:       OpenCL C
    .language_version:
      - 2
      - 0
    .max_flat_workgroup_size: 256
    .name:           _Z16operation_kernelIiLj256ELj1EL23memory_operation_method0E9operationIL16kernel_operation0EiLj1ELj256EEEvPT_S5_T3_
    .private_segment_fixed_size: 0
    .sgpr_count:     11
    .sgpr_spill_count: 0
    .symbol:         _Z16operation_kernelIiLj256ELj1EL23memory_operation_method0E9operationIL16kernel_operation0EiLj1ELj256EEEvPT_S5_T3_.kd
    .uniform_work_group_size: 1
    .uses_dynamic_stack: false
    .vgpr_count:     2
    .vgpr_spill_count: 0
    .wavefront_size: 64
  - .agpr_count:     0
    .args:
      - .address_space:  global
        .offset:         0
        .size:           8
        .value_kind:     global_buffer
      - .address_space:  global
        .offset:         8
        .size:           8
        .value_kind:     global_buffer
      - .offset:         16
        .size:           1
        .value_kind:     by_value
    .group_segment_fixed_size: 0
    .kernarg_segment_align: 8
    .kernarg_segment_size: 20
    .language:       OpenCL C
    .language_version:
      - 2
      - 0
    .max_flat_workgroup_size: 256
    .name:           _Z16operation_kernelIiLj256ELj2EL23memory_operation_method0E9operationIL16kernel_operation0EiLj2ELj256EEEvPT_S5_T3_
    .private_segment_fixed_size: 0
    .sgpr_count:     11
    .sgpr_spill_count: 0
    .symbol:         _Z16operation_kernelIiLj256ELj2EL23memory_operation_method0E9operationIL16kernel_operation0EiLj2ELj256EEEvPT_S5_T3_.kd
    .uniform_work_group_size: 1
    .uses_dynamic_stack: false
    .vgpr_count:     3
    .vgpr_spill_count: 0
    .wavefront_size: 64
  - .agpr_count:     0
    .args:
      - .address_space:  global
        .offset:         0
        .size:           8
        .value_kind:     global_buffer
      - .address_space:  global
        .offset:         8
        .size:           8
        .value_kind:     global_buffer
      - .offset:         16
        .size:           1
        .value_kind:     by_value
    .group_segment_fixed_size: 0
    .kernarg_segment_align: 8
    .kernarg_segment_size: 20
    .language:       OpenCL C
    .language_version:
      - 2
      - 0
    .max_flat_workgroup_size: 256
    .name:           _Z16operation_kernelIiLj256ELj4EL23memory_operation_method0E9operationIL16kernel_operation0EiLj4ELj256EEEvPT_S5_T3_
    .private_segment_fixed_size: 0
    .sgpr_count:     11
    .sgpr_spill_count: 0
    .symbol:         _Z16operation_kernelIiLj256ELj4EL23memory_operation_method0E9operationIL16kernel_operation0EiLj4ELj256EEEvPT_S5_T3_.kd
    .uniform_work_group_size: 1
    .uses_dynamic_stack: false
    .vgpr_count:     5
    .vgpr_spill_count: 0
    .wavefront_size: 64
  - .agpr_count:     0
    .args:
      - .address_space:  global
        .offset:         0
        .size:           8
        .value_kind:     global_buffer
      - .address_space:  global
        .offset:         8
        .size:           8
        .value_kind:     global_buffer
      - .offset:         16
        .size:           1
        .value_kind:     by_value
    .group_segment_fixed_size: 0
    .kernarg_segment_align: 8
    .kernarg_segment_size: 20
    .language:       OpenCL C
    .language_version:
      - 2
      - 0
    .max_flat_workgroup_size: 256
    .name:           _Z16operation_kernelIiLj256ELj8EL23memory_operation_method0E9operationIL16kernel_operation0EiLj8ELj256EEEvPT_S5_T3_
    .private_segment_fixed_size: 0
    .sgpr_count:     11
    .sgpr_spill_count: 0
    .symbol:         _Z16operation_kernelIiLj256ELj8EL23memory_operation_method0E9operationIL16kernel_operation0EiLj8ELj256EEEvPT_S5_T3_.kd
    .uniform_work_group_size: 1
    .uses_dynamic_stack: false
    .vgpr_count:     9
    .vgpr_spill_count: 0
    .wavefront_size: 64
  - .agpr_count:     0
    .args:
      - .address_space:  global
        .offset:         0
        .size:           8
        .value_kind:     global_buffer
      - .address_space:  global
        .offset:         8
        .size:           8
        .value_kind:     global_buffer
      - .offset:         16
        .size:           1
        .value_kind:     by_value
    .group_segment_fixed_size: 0
    .kernarg_segment_align: 8
    .kernarg_segment_size: 20
    .language:       OpenCL C
    .language_version:
      - 2
      - 0
    .max_flat_workgroup_size: 256
    .name:           _Z16operation_kernelIiLj256ELj1EL23memory_operation_method1E9operationIL16kernel_operation0EiLj1ELj256EEEvPT_S5_T3_
    .private_segment_fixed_size: 0
    .sgpr_count:     11
    .sgpr_spill_count: 0
    .symbol:         _Z16operation_kernelIiLj256ELj1EL23memory_operation_method1E9operationIL16kernel_operation0EiLj1ELj256EEEvPT_S5_T3_.kd
    .uniform_work_group_size: 1
    .uses_dynamic_stack: false
    .vgpr_count:     2
    .vgpr_spill_count: 0
    .wavefront_size: 64
  - .agpr_count:     0
    .args:
      - .address_space:  global
        .offset:         0
        .size:           8
        .value_kind:     global_buffer
      - .address_space:  global
        .offset:         8
        .size:           8
        .value_kind:     global_buffer
      - .offset:         16
        .size:           1
        .value_kind:     by_value
    .group_segment_fixed_size: 0
    .kernarg_segment_align: 8
    .kernarg_segment_size: 20
    .language:       OpenCL C
    .language_version:
      - 2
      - 0
    .max_flat_workgroup_size: 256
    .name:           _Z16operation_kernelIiLj256ELj2EL23memory_operation_method1E9operationIL16kernel_operation0EiLj2ELj256EEEvPT_S5_T3_
    .private_segment_fixed_size: 0
    .sgpr_count:     11
    .sgpr_spill_count: 0
    .symbol:         _Z16operation_kernelIiLj256ELj2EL23memory_operation_method1E9operationIL16kernel_operation0EiLj2ELj256EEEvPT_S5_T3_.kd
    .uniform_work_group_size: 1
    .uses_dynamic_stack: false
    .vgpr_count:     3
    .vgpr_spill_count: 0
    .wavefront_size: 64
  - .agpr_count:     0
    .args:
      - .address_space:  global
        .offset:         0
        .size:           8
        .value_kind:     global_buffer
      - .address_space:  global
        .offset:         8
        .size:           8
        .value_kind:     global_buffer
      - .offset:         16
        .size:           1
        .value_kind:     by_value
    .group_segment_fixed_size: 0
    .kernarg_segment_align: 8
    .kernarg_segment_size: 20
    .language:       OpenCL C
    .language_version:
      - 2
      - 0
    .max_flat_workgroup_size: 256
    .name:           _Z16operation_kernelIiLj256ELj4EL23memory_operation_method1E9operationIL16kernel_operation0EiLj4ELj256EEEvPT_S5_T3_
    .private_segment_fixed_size: 0
    .sgpr_count:     11
    .sgpr_spill_count: 0
    .symbol:         _Z16operation_kernelIiLj256ELj4EL23memory_operation_method1E9operationIL16kernel_operation0EiLj4ELj256EEEvPT_S5_T3_.kd
    .uniform_work_group_size: 1
    .uses_dynamic_stack: false
    .vgpr_count:     5
    .vgpr_spill_count: 0
    .wavefront_size: 64
  - .agpr_count:     0
    .args:
      - .address_space:  global
        .offset:         0
        .size:           8
        .value_kind:     global_buffer
      - .address_space:  global
        .offset:         8
        .size:           8
        .value_kind:     global_buffer
      - .offset:         16
        .size:           1
        .value_kind:     by_value
    .group_segment_fixed_size: 0
    .kernarg_segment_align: 8
    .kernarg_segment_size: 20
    .language:       OpenCL C
    .language_version:
      - 2
      - 0
    .max_flat_workgroup_size: 256
    .name:           _Z16operation_kernelIiLj256ELj8EL23memory_operation_method1E9operationIL16kernel_operation0EiLj8ELj256EEEvPT_S5_T3_
    .private_segment_fixed_size: 0
    .sgpr_count:     11
    .sgpr_spill_count: 0
    .symbol:         _Z16operation_kernelIiLj256ELj8EL23memory_operation_method1E9operationIL16kernel_operation0EiLj8ELj256EEEvPT_S5_T3_.kd
    .uniform_work_group_size: 1
    .uses_dynamic_stack: false
    .vgpr_count:     12
    .vgpr_spill_count: 0
    .wavefront_size: 64
  - .agpr_count:     0
    .args:
      - .address_space:  global
        .offset:         0
        .size:           8
        .value_kind:     global_buffer
      - .address_space:  global
        .offset:         8
        .size:           8
        .value_kind:     global_buffer
      - .offset:         16
        .size:           1
        .value_kind:     by_value
    .group_segment_fixed_size: 0
    .kernarg_segment_align: 8
    .kernarg_segment_size: 20
    .language:       OpenCL C
    .language_version:
      - 2
      - 0
    .max_flat_workgroup_size: 256
    .name:           _Z16operation_kernelIiLj256ELj1EL23memory_operation_method2E9operationIL16kernel_operation0EiLj1ELj256EEEvPT_S5_T3_
    .private_segment_fixed_size: 0
    .sgpr_count:     11
    .sgpr_spill_count: 0
    .symbol:         _Z16operation_kernelIiLj256ELj1EL23memory_operation_method2E9operationIL16kernel_operation0EiLj1ELj256EEEvPT_S5_T3_.kd
    .uniform_work_group_size: 1
    .uses_dynamic_stack: false
    .vgpr_count:     2
    .vgpr_spill_count: 0
    .wavefront_size: 64
  - .agpr_count:     0
    .args:
      - .address_space:  global
        .offset:         0
        .size:           8
        .value_kind:     global_buffer
      - .address_space:  global
        .offset:         8
        .size:           8
        .value_kind:     global_buffer
      - .offset:         16
        .size:           1
        .value_kind:     by_value
    .group_segment_fixed_size: 0
    .kernarg_segment_align: 8
    .kernarg_segment_size: 20
    .language:       OpenCL C
    .language_version:
      - 2
      - 0
    .max_flat_workgroup_size: 256
    .name:           _Z16operation_kernelIiLj256ELj2EL23memory_operation_method2E9operationIL16kernel_operation0EiLj2ELj256EEEvPT_S5_T3_
    .private_segment_fixed_size: 0
    .sgpr_count:     11
    .sgpr_spill_count: 0
    .symbol:         _Z16operation_kernelIiLj256ELj2EL23memory_operation_method2E9operationIL16kernel_operation0EiLj2ELj256EEEvPT_S5_T3_.kd
    .uniform_work_group_size: 1
    .uses_dynamic_stack: false
    .vgpr_count:     3
    .vgpr_spill_count: 0
    .wavefront_size: 64
  - .agpr_count:     0
    .args:
      - .address_space:  global
        .offset:         0
        .size:           8
        .value_kind:     global_buffer
      - .address_space:  global
        .offset:         8
        .size:           8
        .value_kind:     global_buffer
      - .offset:         16
        .size:           1
        .value_kind:     by_value
    .group_segment_fixed_size: 0
    .kernarg_segment_align: 8
    .kernarg_segment_size: 20
    .language:       OpenCL C
    .language_version:
      - 2
      - 0
    .max_flat_workgroup_size: 256
    .name:           _Z16operation_kernelIiLj256ELj4EL23memory_operation_method2E9operationIL16kernel_operation0EiLj4ELj256EEEvPT_S5_T3_
    .private_segment_fixed_size: 0
    .sgpr_count:     11
    .sgpr_spill_count: 0
    .symbol:         _Z16operation_kernelIiLj256ELj4EL23memory_operation_method2E9operationIL16kernel_operation0EiLj4ELj256EEEvPT_S5_T3_.kd
    .uniform_work_group_size: 1
    .uses_dynamic_stack: false
    .vgpr_count:     5
    .vgpr_spill_count: 0
    .wavefront_size: 64
  - .agpr_count:     0
    .args:
      - .address_space:  global
        .offset:         0
        .size:           8
        .value_kind:     global_buffer
      - .address_space:  global
        .offset:         8
        .size:           8
        .value_kind:     global_buffer
      - .offset:         16
        .size:           1
        .value_kind:     by_value
    .group_segment_fixed_size: 0
    .kernarg_segment_align: 8
    .kernarg_segment_size: 20
    .language:       OpenCL C
    .language_version:
      - 2
      - 0
    .max_flat_workgroup_size: 256
    .name:           _Z16operation_kernelIiLj256ELj8EL23memory_operation_method2E9operationIL16kernel_operation0EiLj8ELj256EEEvPT_S5_T3_
    .private_segment_fixed_size: 0
    .sgpr_count:     11
    .sgpr_spill_count: 0
    .symbol:         _Z16operation_kernelIiLj256ELj8EL23memory_operation_method2E9operationIL16kernel_operation0EiLj8ELj256EEEvPT_S5_T3_.kd
    .uniform_work_group_size: 1
    .uses_dynamic_stack: false
    .vgpr_count:     9
    .vgpr_spill_count: 0
    .wavefront_size: 64
  - .agpr_count:     0
    .args:
      - .address_space:  global
        .offset:         0
        .size:           8
        .value_kind:     global_buffer
      - .address_space:  global
        .offset:         8
        .size:           8
        .value_kind:     global_buffer
      - .offset:         16
        .size:           1
        .value_kind:     by_value
    .group_segment_fixed_size: 1024
    .kernarg_segment_align: 8
    .kernarg_segment_size: 20
    .language:       OpenCL C
    .language_version:
      - 2
      - 0
    .max_flat_workgroup_size: 256
    .name:           _Z16operation_kernelIiLj256ELj1EL23memory_operation_method3E9operationIL16kernel_operation0EiLj1ELj256EEEvPT_S5_T3_
    .private_segment_fixed_size: 0
    .sgpr_count:     11
    .sgpr_spill_count: 0
    .symbol:         _Z16operation_kernelIiLj256ELj1EL23memory_operation_method3E9operationIL16kernel_operation0EiLj1ELj256EEEvPT_S5_T3_.kd
    .uniform_work_group_size: 1
    .uses_dynamic_stack: false
    .vgpr_count:     2
    .vgpr_spill_count: 0
    .wavefront_size: 64
  - .agpr_count:     0
    .args:
      - .address_space:  global
        .offset:         0
        .size:           8
        .value_kind:     global_buffer
      - .address_space:  global
        .offset:         8
        .size:           8
        .value_kind:     global_buffer
      - .offset:         16
        .size:           1
        .value_kind:     by_value
    .group_segment_fixed_size: 2112
    .kernarg_segment_align: 8
    .kernarg_segment_size: 20
    .language:       OpenCL C
    .language_version:
      - 2
      - 0
    .max_flat_workgroup_size: 256
    .name:           _Z16operation_kernelIiLj256ELj2EL23memory_operation_method3E9operationIL16kernel_operation0EiLj2ELj256EEEvPT_S5_T3_
    .private_segment_fixed_size: 0
    .sgpr_count:     11
    .sgpr_spill_count: 0
    .symbol:         _Z16operation_kernelIiLj256ELj2EL23memory_operation_method3E9operationIL16kernel_operation0EiLj2ELj256EEEvPT_S5_T3_.kd
    .uniform_work_group_size: 1
    .uses_dynamic_stack: false
    .vgpr_count:     8
    .vgpr_spill_count: 0
    .wavefront_size: 64
  - .agpr_count:     0
    .args:
      - .address_space:  global
        .offset:         0
        .size:           8
        .value_kind:     global_buffer
      - .address_space:  global
        .offset:         8
        .size:           8
        .value_kind:     global_buffer
      - .offset:         16
        .size:           1
        .value_kind:     by_value
    .group_segment_fixed_size: 4224
    .kernarg_segment_align: 8
    .kernarg_segment_size: 20
    .language:       OpenCL C
    .language_version:
      - 2
      - 0
    .max_flat_workgroup_size: 256
    .name:           _Z16operation_kernelIiLj256ELj4EL23memory_operation_method3E9operationIL16kernel_operation0EiLj4ELj256EEEvPT_S5_T3_
    .private_segment_fixed_size: 0
    .sgpr_count:     11
    .sgpr_spill_count: 0
    .symbol:         _Z16operation_kernelIiLj256ELj4EL23memory_operation_method3E9operationIL16kernel_operation0EiLj4ELj256EEEvPT_S5_T3_.kd
    .uniform_work_group_size: 1
    .uses_dynamic_stack: false
    .vgpr_count:     11
    .vgpr_spill_count: 0
    .wavefront_size: 64
  - .agpr_count:     0
    .args:
      - .address_space:  global
        .offset:         0
        .size:           8
        .value_kind:     global_buffer
      - .address_space:  global
        .offset:         8
        .size:           8
        .value_kind:     global_buffer
      - .offset:         16
        .size:           1
        .value_kind:     by_value
    .group_segment_fixed_size: 8448
    .kernarg_segment_align: 8
    .kernarg_segment_size: 20
    .language:       OpenCL C
    .language_version:
      - 2
      - 0
    .max_flat_workgroup_size: 256
    .name:           _Z16operation_kernelIiLj256ELj8EL23memory_operation_method3E9operationIL16kernel_operation0EiLj8ELj256EEEvPT_S5_T3_
    .private_segment_fixed_size: 0
    .sgpr_count:     11
    .sgpr_spill_count: 0
    .symbol:         _Z16operation_kernelIiLj256ELj8EL23memory_operation_method3E9operationIL16kernel_operation0EiLj8ELj256EEEvPT_S5_T3_.kd
    .uniform_work_group_size: 1
    .uses_dynamic_stack: false
    .vgpr_count:     22
    .vgpr_spill_count: 0
    .wavefront_size: 64
  - .agpr_count:     0
    .args:
      - .address_space:  global
        .offset:         0
        .size:           8
        .value_kind:     global_buffer
      - .address_space:  global
        .offset:         8
        .size:           8
        .value_kind:     global_buffer
      - .offset:         16
        .size:           1
        .value_kind:     by_value
    .group_segment_fixed_size: 1024
    .kernarg_segment_align: 8
    .kernarg_segment_size: 20
    .language:       OpenCL C
    .language_version:
      - 2
      - 0
    .max_flat_workgroup_size: 256
    .name:           _Z16operation_kernelIiLj256ELj1EL23memory_operation_method4E9operationIL16kernel_operation0EiLj1ELj256EEEvPT_S5_T3_
    .private_segment_fixed_size: 0
    .sgpr_count:     11
    .sgpr_spill_count: 0
    .symbol:         _Z16operation_kernelIiLj256ELj1EL23memory_operation_method4E9operationIL16kernel_operation0EiLj1ELj256EEEvPT_S5_T3_.kd
    .uniform_work_group_size: 1
    .uses_dynamic_stack: false
    .vgpr_count:     7
    .vgpr_spill_count: 0
    .wavefront_size: 64
  - .agpr_count:     0
    .args:
      - .address_space:  global
        .offset:         0
        .size:           8
        .value_kind:     global_buffer
      - .address_space:  global
        .offset:         8
        .size:           8
        .value_kind:     global_buffer
      - .offset:         16
        .size:           1
        .value_kind:     by_value
    .group_segment_fixed_size: 2112
    .kernarg_segment_align: 8
    .kernarg_segment_size: 20
    .language:       OpenCL C
    .language_version:
      - 2
      - 0
    .max_flat_workgroup_size: 256
    .name:           _Z16operation_kernelIiLj256ELj2EL23memory_operation_method4E9operationIL16kernel_operation0EiLj2ELj256EEEvPT_S5_T3_
    .private_segment_fixed_size: 0
    .sgpr_count:     11
    .sgpr_spill_count: 0
    .symbol:         _Z16operation_kernelIiLj256ELj2EL23memory_operation_method4E9operationIL16kernel_operation0EiLj2ELj256EEEvPT_S5_T3_.kd
    .uniform_work_group_size: 1
    .uses_dynamic_stack: false
    .vgpr_count:     10
    .vgpr_spill_count: 0
    .wavefront_size: 64
  - .agpr_count:     0
    .args:
      - .address_space:  global
        .offset:         0
        .size:           8
        .value_kind:     global_buffer
      - .address_space:  global
        .offset:         8
        .size:           8
        .value_kind:     global_buffer
      - .offset:         16
        .size:           1
        .value_kind:     by_value
    .group_segment_fixed_size: 4224
    .kernarg_segment_align: 8
    .kernarg_segment_size: 20
    .language:       OpenCL C
    .language_version:
      - 2
      - 0
    .max_flat_workgroup_size: 256
    .name:           _Z16operation_kernelIiLj256ELj4EL23memory_operation_method4E9operationIL16kernel_operation0EiLj4ELj256EEEvPT_S5_T3_
    .private_segment_fixed_size: 0
    .sgpr_count:     11
    .sgpr_spill_count: 0
    .symbol:         _Z16operation_kernelIiLj256ELj4EL23memory_operation_method4E9operationIL16kernel_operation0EiLj4ELj256EEEvPT_S5_T3_.kd
    .uniform_work_group_size: 1
    .uses_dynamic_stack: false
    .vgpr_count:     16
    .vgpr_spill_count: 0
    .wavefront_size: 64
  - .agpr_count:     0
    .args:
      - .address_space:  global
        .offset:         0
        .size:           8
        .value_kind:     global_buffer
      - .address_space:  global
        .offset:         8
        .size:           8
        .value_kind:     global_buffer
      - .offset:         16
        .size:           1
        .value_kind:     by_value
    .group_segment_fixed_size: 8448
    .kernarg_segment_align: 8
    .kernarg_segment_size: 20
    .language:       OpenCL C
    .language_version:
      - 2
      - 0
    .max_flat_workgroup_size: 256
    .name:           _Z16operation_kernelIiLj256ELj8EL23memory_operation_method4E9operationIL16kernel_operation0EiLj8ELj256EEEvPT_S5_T3_
    .private_segment_fixed_size: 0
    .sgpr_count:     11
    .sgpr_spill_count: 0
    .symbol:         _Z16operation_kernelIiLj256ELj8EL23memory_operation_method4E9operationIL16kernel_operation0EiLj8ELj256EEEvPT_S5_T3_.kd
    .uniform_work_group_size: 1
    .uses_dynamic_stack: false
    .vgpr_count:     27
    .vgpr_spill_count: 0
    .wavefront_size: 64
  - .agpr_count:     0
    .args:
      - .address_space:  global
        .offset:         0
        .size:           8
        .value_kind:     global_buffer
      - .address_space:  global
        .offset:         8
        .size:           8
        .value_kind:     global_buffer
      - .offset:         16
        .size:           1
        .value_kind:     by_value
    .group_segment_fixed_size: 16
    .kernarg_segment_align: 8
    .kernarg_segment_size: 20
    .language:       OpenCL C
    .language_version:
      - 2
      - 0
    .max_flat_workgroup_size: 256
    .name:           _Z16operation_kernelIiLj256ELj1EL23memory_operation_method0E9operationIL16kernel_operation1EiLj1ELj256EEEvPT_S5_T3_
    .private_segment_fixed_size: 0
    .sgpr_count:     11
    .sgpr_spill_count: 0
    .symbol:         _Z16operation_kernelIiLj256ELj1EL23memory_operation_method0E9operationIL16kernel_operation1EiLj1ELj256EEEvPT_S5_T3_.kd
    .uniform_work_group_size: 1
    .uses_dynamic_stack: false
    .vgpr_count:     9
    .vgpr_spill_count: 0
    .wavefront_size: 64
  - .agpr_count:     0
    .args:
      - .address_space:  global
        .offset:         0
        .size:           8
        .value_kind:     global_buffer
      - .address_space:  global
        .offset:         8
        .size:           8
        .value_kind:     global_buffer
      - .offset:         16
        .size:           1
        .value_kind:     by_value
    .group_segment_fixed_size: 16
    .kernarg_segment_align: 8
    .kernarg_segment_size: 20
    .language:       OpenCL C
    .language_version:
      - 2
      - 0
    .max_flat_workgroup_size: 256
    .name:           _Z16operation_kernelIiLj256ELj2EL23memory_operation_method0E9operationIL16kernel_operation1EiLj2ELj256EEEvPT_S5_T3_
    .private_segment_fixed_size: 0
    .sgpr_count:     11
    .sgpr_spill_count: 0
    .symbol:         _Z16operation_kernelIiLj256ELj2EL23memory_operation_method0E9operationIL16kernel_operation1EiLj2ELj256EEEvPT_S5_T3_.kd
    .uniform_work_group_size: 1
    .uses_dynamic_stack: false
    .vgpr_count:     11
    .vgpr_spill_count: 0
    .wavefront_size: 64
  - .agpr_count:     0
    .args:
      - .address_space:  global
        .offset:         0
        .size:           8
        .value_kind:     global_buffer
      - .address_space:  global
        .offset:         8
        .size:           8
        .value_kind:     global_buffer
      - .offset:         16
        .size:           1
        .value_kind:     by_value
    .group_segment_fixed_size: 16
    .kernarg_segment_align: 8
    .kernarg_segment_size: 20
    .language:       OpenCL C
    .language_version:
      - 2
      - 0
    .max_flat_workgroup_size: 256
    .name:           _Z16operation_kernelIiLj256ELj4EL23memory_operation_method0E9operationIL16kernel_operation1EiLj4ELj256EEEvPT_S5_T3_
    .private_segment_fixed_size: 0
    .sgpr_count:     11
    .sgpr_spill_count: 0
    .symbol:         _Z16operation_kernelIiLj256ELj4EL23memory_operation_method0E9operationIL16kernel_operation1EiLj4ELj256EEEvPT_S5_T3_.kd
    .uniform_work_group_size: 1
    .uses_dynamic_stack: false
    .vgpr_count:     12
    .vgpr_spill_count: 0
    .wavefront_size: 64
  - .agpr_count:     0
    .args:
      - .address_space:  global
        .offset:         0
        .size:           8
        .value_kind:     global_buffer
      - .address_space:  global
        .offset:         8
        .size:           8
        .value_kind:     global_buffer
      - .offset:         16
        .size:           1
        .value_kind:     by_value
    .group_segment_fixed_size: 16
    .kernarg_segment_align: 8
    .kernarg_segment_size: 20
    .language:       OpenCL C
    .language_version:
      - 2
      - 0
    .max_flat_workgroup_size: 256
    .name:           _Z16operation_kernelIiLj256ELj8EL23memory_operation_method0E9operationIL16kernel_operation1EiLj8ELj256EEEvPT_S5_T3_
    .private_segment_fixed_size: 0
    .sgpr_count:     11
    .sgpr_spill_count: 0
    .symbol:         _Z16operation_kernelIiLj256ELj8EL23memory_operation_method0E9operationIL16kernel_operation1EiLj8ELj256EEEvPT_S5_T3_.kd
    .uniform_work_group_size: 1
    .uses_dynamic_stack: false
    .vgpr_count:     17
    .vgpr_spill_count: 0
    .wavefront_size: 64
  - .agpr_count:     0
    .args:
      - .address_space:  global
        .offset:         0
        .size:           8
        .value_kind:     global_buffer
      - .address_space:  global
        .offset:         8
        .size:           8
        .value_kind:     global_buffer
      - .offset:         16
        .size:           1
        .value_kind:     by_value
    .group_segment_fixed_size: 16
    .kernarg_segment_align: 8
    .kernarg_segment_size: 20
    .language:       OpenCL C
    .language_version:
      - 2
      - 0
    .max_flat_workgroup_size: 256
    .name:           _Z16operation_kernelIiLj256ELj1EL23memory_operation_method1E9operationIL16kernel_operation1EiLj1ELj256EEEvPT_S5_T3_
    .private_segment_fixed_size: 0
    .sgpr_count:     11
    .sgpr_spill_count: 0
    .symbol:         _Z16operation_kernelIiLj256ELj1EL23memory_operation_method1E9operationIL16kernel_operation1EiLj1ELj256EEEvPT_S5_T3_.kd
    .uniform_work_group_size: 1
    .uses_dynamic_stack: false
    .vgpr_count:     9
    .vgpr_spill_count: 0
    .wavefront_size: 64
  - .agpr_count:     0
    .args:
      - .address_space:  global
        .offset:         0
        .size:           8
        .value_kind:     global_buffer
      - .address_space:  global
        .offset:         8
        .size:           8
        .value_kind:     global_buffer
      - .offset:         16
        .size:           1
        .value_kind:     by_value
    .group_segment_fixed_size: 16
    .kernarg_segment_align: 8
    .kernarg_segment_size: 20
    .language:       OpenCL C
    .language_version:
      - 2
      - 0
    .max_flat_workgroup_size: 256
    .name:           _Z16operation_kernelIiLj256ELj2EL23memory_operation_method1E9operationIL16kernel_operation1EiLj2ELj256EEEvPT_S5_T3_
    .private_segment_fixed_size: 0
    .sgpr_count:     11
    .sgpr_spill_count: 0
    .symbol:         _Z16operation_kernelIiLj256ELj2EL23memory_operation_method1E9operationIL16kernel_operation1EiLj2ELj256EEEvPT_S5_T3_.kd
    .uniform_work_group_size: 1
    .uses_dynamic_stack: false
    .vgpr_count:     11
    .vgpr_spill_count: 0
    .wavefront_size: 64
  - .agpr_count:     0
    .args:
      - .address_space:  global
        .offset:         0
        .size:           8
        .value_kind:     global_buffer
      - .address_space:  global
        .offset:         8
        .size:           8
        .value_kind:     global_buffer
      - .offset:         16
        .size:           1
        .value_kind:     by_value
    .group_segment_fixed_size: 16
    .kernarg_segment_align: 8
    .kernarg_segment_size: 20
    .language:       OpenCL C
    .language_version:
      - 2
      - 0
    .max_flat_workgroup_size: 256
    .name:           _Z16operation_kernelIiLj256ELj4EL23memory_operation_method1E9operationIL16kernel_operation1EiLj4ELj256EEEvPT_S5_T3_
    .private_segment_fixed_size: 0
    .sgpr_count:     11
    .sgpr_spill_count: 0
    .symbol:         _Z16operation_kernelIiLj256ELj4EL23memory_operation_method1E9operationIL16kernel_operation1EiLj4ELj256EEEvPT_S5_T3_.kd
    .uniform_work_group_size: 1
    .uses_dynamic_stack: false
    .vgpr_count:     13
    .vgpr_spill_count: 0
    .wavefront_size: 64
  - .agpr_count:     0
    .args:
      - .address_space:  global
        .offset:         0
        .size:           8
        .value_kind:     global_buffer
      - .address_space:  global
        .offset:         8
        .size:           8
        .value_kind:     global_buffer
      - .offset:         16
        .size:           1
        .value_kind:     by_value
    .group_segment_fixed_size: 16
    .kernarg_segment_align: 8
    .kernarg_segment_size: 20
    .language:       OpenCL C
    .language_version:
      - 2
      - 0
    .max_flat_workgroup_size: 256
    .name:           _Z16operation_kernelIiLj256ELj8EL23memory_operation_method1E9operationIL16kernel_operation1EiLj8ELj256EEEvPT_S5_T3_
    .private_segment_fixed_size: 0
    .sgpr_count:     11
    .sgpr_spill_count: 0
    .symbol:         _Z16operation_kernelIiLj256ELj8EL23memory_operation_method1E9operationIL16kernel_operation1EiLj8ELj256EEEvPT_S5_T3_.kd
    .uniform_work_group_size: 1
    .uses_dynamic_stack: false
    .vgpr_count:     17
    .vgpr_spill_count: 0
    .wavefront_size: 64
  - .agpr_count:     0
    .args:
      - .address_space:  global
        .offset:         0
        .size:           8
        .value_kind:     global_buffer
      - .address_space:  global
        .offset:         8
        .size:           8
        .value_kind:     global_buffer
      - .offset:         16
        .size:           1
        .value_kind:     by_value
    .group_segment_fixed_size: 16
    .kernarg_segment_align: 8
    .kernarg_segment_size: 20
    .language:       OpenCL C
    .language_version:
      - 2
      - 0
    .max_flat_workgroup_size: 256
    .name:           _Z16operation_kernelIiLj256ELj1EL23memory_operation_method2E9operationIL16kernel_operation1EiLj1ELj256EEEvPT_S5_T3_
    .private_segment_fixed_size: 0
    .sgpr_count:     11
    .sgpr_spill_count: 0
    .symbol:         _Z16operation_kernelIiLj256ELj1EL23memory_operation_method2E9operationIL16kernel_operation1EiLj1ELj256EEEvPT_S5_T3_.kd
    .uniform_work_group_size: 1
    .uses_dynamic_stack: false
    .vgpr_count:     9
    .vgpr_spill_count: 0
    .wavefront_size: 64
  - .agpr_count:     0
    .args:
      - .address_space:  global
        .offset:         0
        .size:           8
        .value_kind:     global_buffer
      - .address_space:  global
        .offset:         8
        .size:           8
        .value_kind:     global_buffer
      - .offset:         16
        .size:           1
        .value_kind:     by_value
    .group_segment_fixed_size: 16
    .kernarg_segment_align: 8
    .kernarg_segment_size: 20
    .language:       OpenCL C
    .language_version:
      - 2
      - 0
    .max_flat_workgroup_size: 256
    .name:           _Z16operation_kernelIiLj256ELj2EL23memory_operation_method2E9operationIL16kernel_operation1EiLj2ELj256EEEvPT_S5_T3_
    .private_segment_fixed_size: 0
    .sgpr_count:     11
    .sgpr_spill_count: 0
    .symbol:         _Z16operation_kernelIiLj256ELj2EL23memory_operation_method2E9operationIL16kernel_operation1EiLj2ELj256EEEvPT_S5_T3_.kd
    .uniform_work_group_size: 1
    .uses_dynamic_stack: false
    .vgpr_count:     11
    .vgpr_spill_count: 0
    .wavefront_size: 64
  - .agpr_count:     0
    .args:
      - .address_space:  global
        .offset:         0
        .size:           8
        .value_kind:     global_buffer
      - .address_space:  global
        .offset:         8
        .size:           8
        .value_kind:     global_buffer
      - .offset:         16
        .size:           1
        .value_kind:     by_value
    .group_segment_fixed_size: 16
    .kernarg_segment_align: 8
    .kernarg_segment_size: 20
    .language:       OpenCL C
    .language_version:
      - 2
      - 0
    .max_flat_workgroup_size: 256
    .name:           _Z16operation_kernelIiLj256ELj4EL23memory_operation_method2E9operationIL16kernel_operation1EiLj4ELj256EEEvPT_S5_T3_
    .private_segment_fixed_size: 0
    .sgpr_count:     11
    .sgpr_spill_count: 0
    .symbol:         _Z16operation_kernelIiLj256ELj4EL23memory_operation_method2E9operationIL16kernel_operation1EiLj4ELj256EEEvPT_S5_T3_.kd
    .uniform_work_group_size: 1
    .uses_dynamic_stack: false
    .vgpr_count:     13
    .vgpr_spill_count: 0
    .wavefront_size: 64
  - .agpr_count:     0
    .args:
      - .address_space:  global
        .offset:         0
        .size:           8
        .value_kind:     global_buffer
      - .address_space:  global
        .offset:         8
        .size:           8
        .value_kind:     global_buffer
      - .offset:         16
        .size:           1
        .value_kind:     by_value
    .group_segment_fixed_size: 16
    .kernarg_segment_align: 8
    .kernarg_segment_size: 20
    .language:       OpenCL C
    .language_version:
      - 2
      - 0
    .max_flat_workgroup_size: 256
    .name:           _Z16operation_kernelIiLj256ELj8EL23memory_operation_method2E9operationIL16kernel_operation1EiLj8ELj256EEEvPT_S5_T3_
    .private_segment_fixed_size: 0
    .sgpr_count:     11
    .sgpr_spill_count: 0
    .symbol:         _Z16operation_kernelIiLj256ELj8EL23memory_operation_method2E9operationIL16kernel_operation1EiLj8ELj256EEEvPT_S5_T3_.kd
    .uniform_work_group_size: 1
    .uses_dynamic_stack: false
    .vgpr_count:     17
    .vgpr_spill_count: 0
    .wavefront_size: 64
  - .agpr_count:     0
    .args:
      - .address_space:  global
        .offset:         0
        .size:           8
        .value_kind:     global_buffer
      - .address_space:  global
        .offset:         8
        .size:           8
        .value_kind:     global_buffer
      - .offset:         16
        .size:           1
        .value_kind:     by_value
    .group_segment_fixed_size: 1024
    .kernarg_segment_align: 8
    .kernarg_segment_size: 20
    .language:       OpenCL C
    .language_version:
      - 2
      - 0
    .max_flat_workgroup_size: 256
    .name:           _Z16operation_kernelIiLj256ELj1EL23memory_operation_method3E9operationIL16kernel_operation1EiLj1ELj256EEEvPT_S5_T3_
    .private_segment_fixed_size: 0
    .sgpr_count:     11
    .sgpr_spill_count: 0
    .symbol:         _Z16operation_kernelIiLj256ELj1EL23memory_operation_method3E9operationIL16kernel_operation1EiLj1ELj256EEEvPT_S5_T3_.kd
    .uniform_work_group_size: 1
    .uses_dynamic_stack: false
    .vgpr_count:     9
    .vgpr_spill_count: 0
    .wavefront_size: 64
  - .agpr_count:     0
    .args:
      - .address_space:  global
        .offset:         0
        .size:           8
        .value_kind:     global_buffer
      - .address_space:  global
        .offset:         8
        .size:           8
        .value_kind:     global_buffer
      - .offset:         16
        .size:           1
        .value_kind:     by_value
    .group_segment_fixed_size: 2112
    .kernarg_segment_align: 8
    .kernarg_segment_size: 20
    .language:       OpenCL C
    .language_version:
      - 2
      - 0
    .max_flat_workgroup_size: 256
    .name:           _Z16operation_kernelIiLj256ELj2EL23memory_operation_method3E9operationIL16kernel_operation1EiLj2ELj256EEEvPT_S5_T3_
    .private_segment_fixed_size: 0
    .sgpr_count:     11
    .sgpr_spill_count: 0
    .symbol:         _Z16operation_kernelIiLj256ELj2EL23memory_operation_method3E9operationIL16kernel_operation1EiLj2ELj256EEEvPT_S5_T3_.kd
    .uniform_work_group_size: 1
    .uses_dynamic_stack: false
    .vgpr_count:     14
    .vgpr_spill_count: 0
    .wavefront_size: 64
  - .agpr_count:     0
    .args:
      - .address_space:  global
        .offset:         0
        .size:           8
        .value_kind:     global_buffer
      - .address_space:  global
        .offset:         8
        .size:           8
        .value_kind:     global_buffer
      - .offset:         16
        .size:           1
        .value_kind:     by_value
    .group_segment_fixed_size: 4224
    .kernarg_segment_align: 8
    .kernarg_segment_size: 20
    .language:       OpenCL C
    .language_version:
      - 2
      - 0
    .max_flat_workgroup_size: 256
    .name:           _Z16operation_kernelIiLj256ELj4EL23memory_operation_method3E9operationIL16kernel_operation1EiLj4ELj256EEEvPT_S5_T3_
    .private_segment_fixed_size: 0
    .sgpr_count:     11
    .sgpr_spill_count: 0
    .symbol:         _Z16operation_kernelIiLj256ELj4EL23memory_operation_method3E9operationIL16kernel_operation1EiLj4ELj256EEEvPT_S5_T3_.kd
    .uniform_work_group_size: 1
    .uses_dynamic_stack: false
    .vgpr_count:     18
    .vgpr_spill_count: 0
    .wavefront_size: 64
  - .agpr_count:     0
    .args:
      - .address_space:  global
        .offset:         0
        .size:           8
        .value_kind:     global_buffer
      - .address_space:  global
        .offset:         8
        .size:           8
        .value_kind:     global_buffer
      - .offset:         16
        .size:           1
        .value_kind:     by_value
    .group_segment_fixed_size: 8448
    .kernarg_segment_align: 8
    .kernarg_segment_size: 20
    .language:       OpenCL C
    .language_version:
      - 2
      - 0
    .max_flat_workgroup_size: 256
    .name:           _Z16operation_kernelIiLj256ELj8EL23memory_operation_method3E9operationIL16kernel_operation1EiLj8ELj256EEEvPT_S5_T3_
    .private_segment_fixed_size: 0
    .sgpr_count:     11
    .sgpr_spill_count: 0
    .symbol:         _Z16operation_kernelIiLj256ELj8EL23memory_operation_method3E9operationIL16kernel_operation1EiLj8ELj256EEEvPT_S5_T3_.kd
    .uniform_work_group_size: 1
    .uses_dynamic_stack: false
    .vgpr_count:     26
    .vgpr_spill_count: 0
    .wavefront_size: 64
  - .agpr_count:     0
    .args:
      - .address_space:  global
        .offset:         0
        .size:           8
        .value_kind:     global_buffer
      - .address_space:  global
        .offset:         8
        .size:           8
        .value_kind:     global_buffer
      - .offset:         16
        .size:           1
        .value_kind:     by_value
    .group_segment_fixed_size: 1024
    .kernarg_segment_align: 8
    .kernarg_segment_size: 20
    .language:       OpenCL C
    .language_version:
      - 2
      - 0
    .max_flat_workgroup_size: 256
    .name:           _Z16operation_kernelIiLj256ELj1EL23memory_operation_method4E9operationIL16kernel_operation1EiLj1ELj256EEEvPT_S5_T3_
    .private_segment_fixed_size: 0
    .sgpr_count:     11
    .sgpr_spill_count: 0
    .symbol:         _Z16operation_kernelIiLj256ELj1EL23memory_operation_method4E9operationIL16kernel_operation1EiLj1ELj256EEEvPT_S5_T3_.kd
    .uniform_work_group_size: 1
    .uses_dynamic_stack: false
    .vgpr_count:     11
    .vgpr_spill_count: 0
    .wavefront_size: 64
  - .agpr_count:     0
    .args:
      - .address_space:  global
        .offset:         0
        .size:           8
        .value_kind:     global_buffer
      - .address_space:  global
        .offset:         8
        .size:           8
        .value_kind:     global_buffer
      - .offset:         16
        .size:           1
        .value_kind:     by_value
    .group_segment_fixed_size: 2112
    .kernarg_segment_align: 8
    .kernarg_segment_size: 20
    .language:       OpenCL C
    .language_version:
      - 2
      - 0
    .max_flat_workgroup_size: 256
    .name:           _Z16operation_kernelIiLj256ELj2EL23memory_operation_method4E9operationIL16kernel_operation1EiLj2ELj256EEEvPT_S5_T3_
    .private_segment_fixed_size: 0
    .sgpr_count:     11
    .sgpr_spill_count: 0
    .symbol:         _Z16operation_kernelIiLj256ELj2EL23memory_operation_method4E9operationIL16kernel_operation1EiLj2ELj256EEEvPT_S5_T3_.kd
    .uniform_work_group_size: 1
    .uses_dynamic_stack: false
    .vgpr_count:     16
    .vgpr_spill_count: 0
    .wavefront_size: 64
  - .agpr_count:     0
    .args:
      - .address_space:  global
        .offset:         0
        .size:           8
        .value_kind:     global_buffer
      - .address_space:  global
        .offset:         8
        .size:           8
        .value_kind:     global_buffer
      - .offset:         16
        .size:           1
        .value_kind:     by_value
    .group_segment_fixed_size: 4224
    .kernarg_segment_align: 8
    .kernarg_segment_size: 20
    .language:       OpenCL C
    .language_version:
      - 2
      - 0
    .max_flat_workgroup_size: 256
    .name:           _Z16operation_kernelIiLj256ELj4EL23memory_operation_method4E9operationIL16kernel_operation1EiLj4ELj256EEEvPT_S5_T3_
    .private_segment_fixed_size: 0
    .sgpr_count:     11
    .sgpr_spill_count: 0
    .symbol:         _Z16operation_kernelIiLj256ELj4EL23memory_operation_method4E9operationIL16kernel_operation1EiLj4ELj256EEEvPT_S5_T3_.kd
    .uniform_work_group_size: 1
    .uses_dynamic_stack: false
    .vgpr_count:     21
    .vgpr_spill_count: 0
    .wavefront_size: 64
  - .agpr_count:     0
    .args:
      - .address_space:  global
        .offset:         0
        .size:           8
        .value_kind:     global_buffer
      - .address_space:  global
        .offset:         8
        .size:           8
        .value_kind:     global_buffer
      - .offset:         16
        .size:           1
        .value_kind:     by_value
    .group_segment_fixed_size: 8448
    .kernarg_segment_align: 8
    .kernarg_segment_size: 20
    .language:       OpenCL C
    .language_version:
      - 2
      - 0
    .max_flat_workgroup_size: 256
    .name:           _Z16operation_kernelIiLj256ELj8EL23memory_operation_method4E9operationIL16kernel_operation1EiLj8ELj256EEEvPT_S5_T3_
    .private_segment_fixed_size: 0
    .sgpr_count:     11
    .sgpr_spill_count: 0
    .symbol:         _Z16operation_kernelIiLj256ELj8EL23memory_operation_method4E9operationIL16kernel_operation1EiLj8ELj256EEEvPT_S5_T3_.kd
    .uniform_work_group_size: 1
    .uses_dynamic_stack: false
    .vgpr_count:     32
    .vgpr_spill_count: 0
    .wavefront_size: 64
  - .agpr_count:     0
    .args:
      - .address_space:  global
        .offset:         0
        .size:           8
        .value_kind:     global_buffer
      - .address_space:  global
        .offset:         8
        .size:           8
        .value_kind:     global_buffer
      - .offset:         16
        .size:           1
        .value_kind:     by_value
    .group_segment_fixed_size: 0
    .kernarg_segment_align: 8
    .kernarg_segment_size: 20
    .language:       OpenCL C
    .language_version:
      - 2
      - 0
    .max_flat_workgroup_size: 256
    .name:           _Z16operation_kernelIiLj256ELj1EL23memory_operation_method0E9operationIL16kernel_operation2EiLj1ELj256EEEvPT_S5_T3_
    .private_segment_fixed_size: 0
    .sgpr_count:     11
    .sgpr_spill_count: 0
    .symbol:         _Z16operation_kernelIiLj256ELj1EL23memory_operation_method0E9operationIL16kernel_operation2EiLj1ELj256EEEvPT_S5_T3_.kd
    .uniform_work_group_size: 1
    .uses_dynamic_stack: false
    .vgpr_count:     2
    .vgpr_spill_count: 0
    .wavefront_size: 64
  - .agpr_count:     0
    .args:
      - .address_space:  global
        .offset:         0
        .size:           8
        .value_kind:     global_buffer
      - .address_space:  global
        .offset:         8
        .size:           8
        .value_kind:     global_buffer
      - .offset:         16
        .size:           1
        .value_kind:     by_value
    .group_segment_fixed_size: 0
    .kernarg_segment_align: 8
    .kernarg_segment_size: 20
    .language:       OpenCL C
    .language_version:
      - 2
      - 0
    .max_flat_workgroup_size: 256
    .name:           _Z16operation_kernelIiLj256ELj2EL23memory_operation_method0E9operationIL16kernel_operation2EiLj2ELj256EEEvPT_S5_T3_
    .private_segment_fixed_size: 0
    .sgpr_count:     11
    .sgpr_spill_count: 0
    .symbol:         _Z16operation_kernelIiLj256ELj2EL23memory_operation_method0E9operationIL16kernel_operation2EiLj2ELj256EEEvPT_S5_T3_.kd
    .uniform_work_group_size: 1
    .uses_dynamic_stack: false
    .vgpr_count:     5
    .vgpr_spill_count: 0
    .wavefront_size: 64
  - .agpr_count:     0
    .args:
      - .address_space:  global
        .offset:         0
        .size:           8
        .value_kind:     global_buffer
      - .address_space:  global
        .offset:         8
        .size:           8
        .value_kind:     global_buffer
      - .offset:         16
        .size:           1
        .value_kind:     by_value
    .group_segment_fixed_size: 0
    .kernarg_segment_align: 8
    .kernarg_segment_size: 20
    .language:       OpenCL C
    .language_version:
      - 2
      - 0
    .max_flat_workgroup_size: 256
    .name:           _Z16operation_kernelIiLj256ELj4EL23memory_operation_method0E9operationIL16kernel_operation2EiLj4ELj256EEEvPT_S5_T3_
    .private_segment_fixed_size: 0
    .sgpr_count:     12
    .sgpr_spill_count: 0
    .symbol:         _Z16operation_kernelIiLj256ELj4EL23memory_operation_method0E9operationIL16kernel_operation2EiLj4ELj256EEEvPT_S5_T3_.kd
    .uniform_work_group_size: 1
    .uses_dynamic_stack: false
    .vgpr_count:     9
    .vgpr_spill_count: 0
    .wavefront_size: 64
  - .agpr_count:     0
    .args:
      - .address_space:  global
        .offset:         0
        .size:           8
        .value_kind:     global_buffer
      - .address_space:  global
        .offset:         8
        .size:           8
        .value_kind:     global_buffer
      - .offset:         16
        .size:           1
        .value_kind:     by_value
    .group_segment_fixed_size: 0
    .kernarg_segment_align: 8
    .kernarg_segment_size: 20
    .language:       OpenCL C
    .language_version:
      - 2
      - 0
    .max_flat_workgroup_size: 256
    .name:           _Z16operation_kernelIiLj256ELj8EL23memory_operation_method0E9operationIL16kernel_operation2EiLj8ELj256EEEvPT_S5_T3_
    .private_segment_fixed_size: 0
    .sgpr_count:     11
    .sgpr_spill_count: 0
    .symbol:         _Z16operation_kernelIiLj256ELj8EL23memory_operation_method0E9operationIL16kernel_operation2EiLj8ELj256EEEvPT_S5_T3_.kd
    .uniform_work_group_size: 1
    .uses_dynamic_stack: false
    .vgpr_count:     19
    .vgpr_spill_count: 0
    .wavefront_size: 64
  - .agpr_count:     0
    .args:
      - .address_space:  global
        .offset:         0
        .size:           8
        .value_kind:     global_buffer
      - .address_space:  global
        .offset:         8
        .size:           8
        .value_kind:     global_buffer
      - .offset:         16
        .size:           1
        .value_kind:     by_value
    .group_segment_fixed_size: 0
    .kernarg_segment_align: 8
    .kernarg_segment_size: 20
    .language:       OpenCL C
    .language_version:
      - 2
      - 0
    .max_flat_workgroup_size: 256
    .name:           _Z16operation_kernelIiLj256ELj1EL23memory_operation_method1E9operationIL16kernel_operation2EiLj1ELj256EEEvPT_S5_T3_
    .private_segment_fixed_size: 0
    .sgpr_count:     11
    .sgpr_spill_count: 0
    .symbol:         _Z16operation_kernelIiLj256ELj1EL23memory_operation_method1E9operationIL16kernel_operation2EiLj1ELj256EEEvPT_S5_T3_.kd
    .uniform_work_group_size: 1
    .uses_dynamic_stack: false
    .vgpr_count:     2
    .vgpr_spill_count: 0
    .wavefront_size: 64
  - .agpr_count:     0
    .args:
      - .address_space:  global
        .offset:         0
        .size:           8
        .value_kind:     global_buffer
      - .address_space:  global
        .offset:         8
        .size:           8
        .value_kind:     global_buffer
      - .offset:         16
        .size:           1
        .value_kind:     by_value
    .group_segment_fixed_size: 0
    .kernarg_segment_align: 8
    .kernarg_segment_size: 20
    .language:       OpenCL C
    .language_version:
      - 2
      - 0
    .max_flat_workgroup_size: 256
    .name:           _Z16operation_kernelIiLj256ELj2EL23memory_operation_method1E9operationIL16kernel_operation2EiLj2ELj256EEEvPT_S5_T3_
    .private_segment_fixed_size: 0
    .sgpr_count:     11
    .sgpr_spill_count: 0
    .symbol:         _Z16operation_kernelIiLj256ELj2EL23memory_operation_method1E9operationIL16kernel_operation2EiLj2ELj256EEEvPT_S5_T3_.kd
    .uniform_work_group_size: 1
    .uses_dynamic_stack: false
    .vgpr_count:     5
    .vgpr_spill_count: 0
    .wavefront_size: 64
  - .agpr_count:     0
    .args:
      - .address_space:  global
        .offset:         0
        .size:           8
        .value_kind:     global_buffer
      - .address_space:  global
        .offset:         8
        .size:           8
        .value_kind:     global_buffer
      - .offset:         16
        .size:           1
        .value_kind:     by_value
    .group_segment_fixed_size: 0
    .kernarg_segment_align: 8
    .kernarg_segment_size: 20
    .language:       OpenCL C
    .language_version:
      - 2
      - 0
    .max_flat_workgroup_size: 256
    .name:           _Z16operation_kernelIiLj256ELj4EL23memory_operation_method1E9operationIL16kernel_operation2EiLj4ELj256EEEvPT_S5_T3_
    .private_segment_fixed_size: 0
    .sgpr_count:     11
    .sgpr_spill_count: 0
    .symbol:         _Z16operation_kernelIiLj256ELj4EL23memory_operation_method1E9operationIL16kernel_operation2EiLj4ELj256EEEvPT_S5_T3_.kd
    .uniform_work_group_size: 1
    .uses_dynamic_stack: false
    .vgpr_count:     9
    .vgpr_spill_count: 0
    .wavefront_size: 64
  - .agpr_count:     0
    .args:
      - .address_space:  global
        .offset:         0
        .size:           8
        .value_kind:     global_buffer
      - .address_space:  global
        .offset:         8
        .size:           8
        .value_kind:     global_buffer
      - .offset:         16
        .size:           1
        .value_kind:     by_value
    .group_segment_fixed_size: 0
    .kernarg_segment_align: 8
    .kernarg_segment_size: 20
    .language:       OpenCL C
    .language_version:
      - 2
      - 0
    .max_flat_workgroup_size: 256
    .name:           _Z16operation_kernelIiLj256ELj8EL23memory_operation_method1E9operationIL16kernel_operation2EiLj8ELj256EEEvPT_S5_T3_
    .private_segment_fixed_size: 0
    .sgpr_count:     11
    .sgpr_spill_count: 0
    .symbol:         _Z16operation_kernelIiLj256ELj8EL23memory_operation_method1E9operationIL16kernel_operation2EiLj8ELj256EEEvPT_S5_T3_.kd
    .uniform_work_group_size: 1
    .uses_dynamic_stack: false
    .vgpr_count:     20
    .vgpr_spill_count: 0
    .wavefront_size: 64
  - .agpr_count:     0
    .args:
      - .address_space:  global
        .offset:         0
        .size:           8
        .value_kind:     global_buffer
      - .address_space:  global
        .offset:         8
        .size:           8
        .value_kind:     global_buffer
      - .offset:         16
        .size:           1
        .value_kind:     by_value
    .group_segment_fixed_size: 0
    .kernarg_segment_align: 8
    .kernarg_segment_size: 20
    .language:       OpenCL C
    .language_version:
      - 2
      - 0
    .max_flat_workgroup_size: 256
    .name:           _Z16operation_kernelIiLj256ELj1EL23memory_operation_method2E9operationIL16kernel_operation2EiLj1ELj256EEEvPT_S5_T3_
    .private_segment_fixed_size: 0
    .sgpr_count:     11
    .sgpr_spill_count: 0
    .symbol:         _Z16operation_kernelIiLj256ELj1EL23memory_operation_method2E9operationIL16kernel_operation2EiLj1ELj256EEEvPT_S5_T3_.kd
    .uniform_work_group_size: 1
    .uses_dynamic_stack: false
    .vgpr_count:     2
    .vgpr_spill_count: 0
    .wavefront_size: 64
  - .agpr_count:     0
    .args:
      - .address_space:  global
        .offset:         0
        .size:           8
        .value_kind:     global_buffer
      - .address_space:  global
        .offset:         8
        .size:           8
        .value_kind:     global_buffer
      - .offset:         16
        .size:           1
        .value_kind:     by_value
    .group_segment_fixed_size: 0
    .kernarg_segment_align: 8
    .kernarg_segment_size: 20
    .language:       OpenCL C
    .language_version:
      - 2
      - 0
    .max_flat_workgroup_size: 256
    .name:           _Z16operation_kernelIiLj256ELj2EL23memory_operation_method2E9operationIL16kernel_operation2EiLj2ELj256EEEvPT_S5_T3_
    .private_segment_fixed_size: 0
    .sgpr_count:     11
    .sgpr_spill_count: 0
    .symbol:         _Z16operation_kernelIiLj256ELj2EL23memory_operation_method2E9operationIL16kernel_operation2EiLj2ELj256EEEvPT_S5_T3_.kd
    .uniform_work_group_size: 1
    .uses_dynamic_stack: false
    .vgpr_count:     5
    .vgpr_spill_count: 0
    .wavefront_size: 64
  - .agpr_count:     0
    .args:
      - .address_space:  global
        .offset:         0
        .size:           8
        .value_kind:     global_buffer
      - .address_space:  global
        .offset:         8
        .size:           8
        .value_kind:     global_buffer
      - .offset:         16
        .size:           1
        .value_kind:     by_value
    .group_segment_fixed_size: 0
    .kernarg_segment_align: 8
    .kernarg_segment_size: 20
    .language:       OpenCL C
    .language_version:
      - 2
      - 0
    .max_flat_workgroup_size: 256
    .name:           _Z16operation_kernelIiLj256ELj4EL23memory_operation_method2E9operationIL16kernel_operation2EiLj4ELj256EEEvPT_S5_T3_
    .private_segment_fixed_size: 0
    .sgpr_count:     12
    .sgpr_spill_count: 0
    .symbol:         _Z16operation_kernelIiLj256ELj4EL23memory_operation_method2E9operationIL16kernel_operation2EiLj4ELj256EEEvPT_S5_T3_.kd
    .uniform_work_group_size: 1
    .uses_dynamic_stack: false
    .vgpr_count:     9
    .vgpr_spill_count: 0
    .wavefront_size: 64
  - .agpr_count:     0
    .args:
      - .address_space:  global
        .offset:         0
        .size:           8
        .value_kind:     global_buffer
      - .address_space:  global
        .offset:         8
        .size:           8
        .value_kind:     global_buffer
      - .offset:         16
        .size:           1
        .value_kind:     by_value
    .group_segment_fixed_size: 0
    .kernarg_segment_align: 8
    .kernarg_segment_size: 20
    .language:       OpenCL C
    .language_version:
      - 2
      - 0
    .max_flat_workgroup_size: 256
    .name:           _Z16operation_kernelIiLj256ELj8EL23memory_operation_method2E9operationIL16kernel_operation2EiLj8ELj256EEEvPT_S5_T3_
    .private_segment_fixed_size: 0
    .sgpr_count:     11
    .sgpr_spill_count: 0
    .symbol:         _Z16operation_kernelIiLj256ELj8EL23memory_operation_method2E9operationIL16kernel_operation2EiLj8ELj256EEEvPT_S5_T3_.kd
    .uniform_work_group_size: 1
    .uses_dynamic_stack: false
    .vgpr_count:     19
    .vgpr_spill_count: 0
    .wavefront_size: 64
  - .agpr_count:     0
    .args:
      - .address_space:  global
        .offset:         0
        .size:           8
        .value_kind:     global_buffer
      - .address_space:  global
        .offset:         8
        .size:           8
        .value_kind:     global_buffer
      - .offset:         16
        .size:           1
        .value_kind:     by_value
    .group_segment_fixed_size: 1024
    .kernarg_segment_align: 8
    .kernarg_segment_size: 20
    .language:       OpenCL C
    .language_version:
      - 2
      - 0
    .max_flat_workgroup_size: 256
    .name:           _Z16operation_kernelIiLj256ELj1EL23memory_operation_method3E9operationIL16kernel_operation2EiLj1ELj256EEEvPT_S5_T3_
    .private_segment_fixed_size: 0
    .sgpr_count:     11
    .sgpr_spill_count: 0
    .symbol:         _Z16operation_kernelIiLj256ELj1EL23memory_operation_method3E9operationIL16kernel_operation2EiLj1ELj256EEEvPT_S5_T3_.kd
    .uniform_work_group_size: 1
    .uses_dynamic_stack: false
    .vgpr_count:     2
    .vgpr_spill_count: 0
    .wavefront_size: 64
  - .agpr_count:     0
    .args:
      - .address_space:  global
        .offset:         0
        .size:           8
        .value_kind:     global_buffer
      - .address_space:  global
        .offset:         8
        .size:           8
        .value_kind:     global_buffer
      - .offset:         16
        .size:           1
        .value_kind:     by_value
    .group_segment_fixed_size: 2112
    .kernarg_segment_align: 8
    .kernarg_segment_size: 20
    .language:       OpenCL C
    .language_version:
      - 2
      - 0
    .max_flat_workgroup_size: 256
    .name:           _Z16operation_kernelIiLj256ELj2EL23memory_operation_method3E9operationIL16kernel_operation2EiLj2ELj256EEEvPT_S5_T3_
    .private_segment_fixed_size: 0
    .sgpr_count:     11
    .sgpr_spill_count: 0
    .symbol:         _Z16operation_kernelIiLj256ELj2EL23memory_operation_method3E9operationIL16kernel_operation2EiLj2ELj256EEEvPT_S5_T3_.kd
    .uniform_work_group_size: 1
    .uses_dynamic_stack: false
    .vgpr_count:     8
    .vgpr_spill_count: 0
    .wavefront_size: 64
  - .agpr_count:     0
    .args:
      - .address_space:  global
        .offset:         0
        .size:           8
        .value_kind:     global_buffer
      - .address_space:  global
        .offset:         8
        .size:           8
        .value_kind:     global_buffer
      - .offset:         16
        .size:           1
        .value_kind:     by_value
    .group_segment_fixed_size: 4224
    .kernarg_segment_align: 8
    .kernarg_segment_size: 20
    .language:       OpenCL C
    .language_version:
      - 2
      - 0
    .max_flat_workgroup_size: 256
    .name:           _Z16operation_kernelIiLj256ELj4EL23memory_operation_method3E9operationIL16kernel_operation2EiLj4ELj256EEEvPT_S5_T3_
    .private_segment_fixed_size: 0
    .sgpr_count:     12
    .sgpr_spill_count: 0
    .symbol:         _Z16operation_kernelIiLj256ELj4EL23memory_operation_method3E9operationIL16kernel_operation2EiLj4ELj256EEEvPT_S5_T3_.kd
    .uniform_work_group_size: 1
    .uses_dynamic_stack: false
    .vgpr_count:     14
    .vgpr_spill_count: 0
    .wavefront_size: 64
  - .agpr_count:     0
    .args:
      - .address_space:  global
        .offset:         0
        .size:           8
        .value_kind:     global_buffer
      - .address_space:  global
        .offset:         8
        .size:           8
        .value_kind:     global_buffer
      - .offset:         16
        .size:           1
        .value_kind:     by_value
    .group_segment_fixed_size: 8448
    .kernarg_segment_align: 8
    .kernarg_segment_size: 20
    .language:       OpenCL C
    .language_version:
      - 2
      - 0
    .max_flat_workgroup_size: 256
    .name:           _Z16operation_kernelIiLj256ELj8EL23memory_operation_method3E9operationIL16kernel_operation2EiLj8ELj256EEEvPT_S5_T3_
    .private_segment_fixed_size: 0
    .sgpr_count:     11
    .sgpr_spill_count: 0
    .symbol:         _Z16operation_kernelIiLj256ELj8EL23memory_operation_method3E9operationIL16kernel_operation2EiLj8ELj256EEEvPT_S5_T3_.kd
    .uniform_work_group_size: 1
    .uses_dynamic_stack: false
    .vgpr_count:     27
    .vgpr_spill_count: 0
    .wavefront_size: 64
  - .agpr_count:     0
    .args:
      - .address_space:  global
        .offset:         0
        .size:           8
        .value_kind:     global_buffer
      - .address_space:  global
        .offset:         8
        .size:           8
        .value_kind:     global_buffer
      - .offset:         16
        .size:           1
        .value_kind:     by_value
    .group_segment_fixed_size: 1024
    .kernarg_segment_align: 8
    .kernarg_segment_size: 20
    .language:       OpenCL C
    .language_version:
      - 2
      - 0
    .max_flat_workgroup_size: 256
    .name:           _Z16operation_kernelIiLj256ELj1EL23memory_operation_method4E9operationIL16kernel_operation2EiLj1ELj256EEEvPT_S5_T3_
    .private_segment_fixed_size: 0
    .sgpr_count:     11
    .sgpr_spill_count: 0
    .symbol:         _Z16operation_kernelIiLj256ELj1EL23memory_operation_method4E9operationIL16kernel_operation2EiLj1ELj256EEEvPT_S5_T3_.kd
    .uniform_work_group_size: 1
    .uses_dynamic_stack: false
    .vgpr_count:     7
    .vgpr_spill_count: 0
    .wavefront_size: 64
  - .agpr_count:     0
    .args:
      - .address_space:  global
        .offset:         0
        .size:           8
        .value_kind:     global_buffer
      - .address_space:  global
        .offset:         8
        .size:           8
        .value_kind:     global_buffer
      - .offset:         16
        .size:           1
        .value_kind:     by_value
    .group_segment_fixed_size: 2112
    .kernarg_segment_align: 8
    .kernarg_segment_size: 20
    .language:       OpenCL C
    .language_version:
      - 2
      - 0
    .max_flat_workgroup_size: 256
    .name:           _Z16operation_kernelIiLj256ELj2EL23memory_operation_method4E9operationIL16kernel_operation2EiLj2ELj256EEEvPT_S5_T3_
    .private_segment_fixed_size: 0
    .sgpr_count:     11
    .sgpr_spill_count: 0
    .symbol:         _Z16operation_kernelIiLj256ELj2EL23memory_operation_method4E9operationIL16kernel_operation2EiLj2ELj256EEEvPT_S5_T3_.kd
    .uniform_work_group_size: 1
    .uses_dynamic_stack: false
    .vgpr_count:     10
    .vgpr_spill_count: 0
    .wavefront_size: 64
  - .agpr_count:     0
    .args:
      - .address_space:  global
        .offset:         0
        .size:           8
        .value_kind:     global_buffer
      - .address_space:  global
        .offset:         8
        .size:           8
        .value_kind:     global_buffer
      - .offset:         16
        .size:           1
        .value_kind:     by_value
    .group_segment_fixed_size: 4224
    .kernarg_segment_align: 8
    .kernarg_segment_size: 20
    .language:       OpenCL C
    .language_version:
      - 2
      - 0
    .max_flat_workgroup_size: 256
    .name:           _Z16operation_kernelIiLj256ELj4EL23memory_operation_method4E9operationIL16kernel_operation2EiLj4ELj256EEEvPT_S5_T3_
    .private_segment_fixed_size: 0
    .sgpr_count:     11
    .sgpr_spill_count: 0
    .symbol:         _Z16operation_kernelIiLj256ELj4EL23memory_operation_method4E9operationIL16kernel_operation2EiLj4ELj256EEEvPT_S5_T3_.kd
    .uniform_work_group_size: 1
    .uses_dynamic_stack: false
    .vgpr_count:     16
    .vgpr_spill_count: 0
    .wavefront_size: 64
  - .agpr_count:     0
    .args:
      - .address_space:  global
        .offset:         0
        .size:           8
        .value_kind:     global_buffer
      - .address_space:  global
        .offset:         8
        .size:           8
        .value_kind:     global_buffer
      - .offset:         16
        .size:           1
        .value_kind:     by_value
    .group_segment_fixed_size: 8448
    .kernarg_segment_align: 8
    .kernarg_segment_size: 20
    .language:       OpenCL C
    .language_version:
      - 2
      - 0
    .max_flat_workgroup_size: 256
    .name:           _Z16operation_kernelIiLj256ELj8EL23memory_operation_method4E9operationIL16kernel_operation2EiLj8ELj256EEEvPT_S5_T3_
    .private_segment_fixed_size: 0
    .sgpr_count:     11
    .sgpr_spill_count: 0
    .symbol:         _Z16operation_kernelIiLj256ELj8EL23memory_operation_method4E9operationIL16kernel_operation2EiLj8ELj256EEEvPT_S5_T3_.kd
    .uniform_work_group_size: 1
    .uses_dynamic_stack: false
    .vgpr_count:     27
    .vgpr_spill_count: 0
    .wavefront_size: 64
  - .agpr_count:     0
    .args:
      - .address_space:  global
        .offset:         0
        .size:           8
        .value_kind:     global_buffer
      - .address_space:  global
        .offset:         8
        .size:           8
        .value_kind:     global_buffer
      - .offset:         16
        .size:           1
        .value_kind:     by_value
      - .offset:         24
        .size:           4
        .value_kind:     hidden_block_count_x
      - .offset:         28
        .size:           4
        .value_kind:     hidden_block_count_y
      - .offset:         32
        .size:           4
        .value_kind:     hidden_block_count_z
      - .offset:         36
        .size:           2
        .value_kind:     hidden_group_size_x
      - .offset:         38
        .size:           2
        .value_kind:     hidden_group_size_y
      - .offset:         40
        .size:           2
        .value_kind:     hidden_group_size_z
      - .offset:         42
        .size:           2
        .value_kind:     hidden_remainder_x
      - .offset:         44
        .size:           2
        .value_kind:     hidden_remainder_y
      - .offset:         46
        .size:           2
        .value_kind:     hidden_remainder_z
      - .offset:         64
        .size:           8
        .value_kind:     hidden_global_offset_x
      - .offset:         72
        .size:           8
        .value_kind:     hidden_global_offset_y
      - .offset:         80
        .size:           8
        .value_kind:     hidden_global_offset_z
      - .offset:         88
        .size:           2
        .value_kind:     hidden_grid_dims
    .group_segment_fixed_size: 0
    .kernarg_segment_align: 8
    .kernarg_segment_size: 280
    .language:       OpenCL C
    .language_version:
      - 2
      - 0
    .max_flat_workgroup_size: 256
    .name:           _Z16operation_kernelIiLj256ELj1EL23memory_operation_method0E9operationIL16kernel_operation3EiLj1ELj256EEEvPT_S5_T3_
    .private_segment_fixed_size: 0
    .sgpr_count:     12
    .sgpr_spill_count: 0
    .symbol:         _Z16operation_kernelIiLj256ELj1EL23memory_operation_method0E9operationIL16kernel_operation3EiLj1ELj256EEEvPT_S5_T3_.kd
    .uniform_work_group_size: 1
    .uses_dynamic_stack: false
    .vgpr_count:     5
    .vgpr_spill_count: 0
    .wavefront_size: 64
  - .agpr_count:     0
    .args:
      - .address_space:  global
        .offset:         0
        .size:           8
        .value_kind:     global_buffer
      - .address_space:  global
        .offset:         8
        .size:           8
        .value_kind:     global_buffer
      - .offset:         16
        .size:           1
        .value_kind:     by_value
      - .offset:         24
        .size:           4
        .value_kind:     hidden_block_count_x
      - .offset:         28
        .size:           4
        .value_kind:     hidden_block_count_y
      - .offset:         32
        .size:           4
        .value_kind:     hidden_block_count_z
      - .offset:         36
        .size:           2
        .value_kind:     hidden_group_size_x
      - .offset:         38
        .size:           2
        .value_kind:     hidden_group_size_y
      - .offset:         40
        .size:           2
        .value_kind:     hidden_group_size_z
      - .offset:         42
        .size:           2
        .value_kind:     hidden_remainder_x
      - .offset:         44
        .size:           2
        .value_kind:     hidden_remainder_y
      - .offset:         46
        .size:           2
        .value_kind:     hidden_remainder_z
      - .offset:         64
        .size:           8
        .value_kind:     hidden_global_offset_x
      - .offset:         72
        .size:           8
        .value_kind:     hidden_global_offset_y
      - .offset:         80
        .size:           8
        .value_kind:     hidden_global_offset_z
      - .offset:         88
        .size:           2
        .value_kind:     hidden_grid_dims
    .group_segment_fixed_size: 0
    .kernarg_segment_align: 8
    .kernarg_segment_size: 280
    .language:       OpenCL C
    .language_version:
      - 2
      - 0
    .max_flat_workgroup_size: 256
    .name:           _Z16operation_kernelIiLj256ELj2EL23memory_operation_method0E9operationIL16kernel_operation3EiLj2ELj256EEEvPT_S5_T3_
    .private_segment_fixed_size: 0
    .sgpr_count:     12
    .sgpr_spill_count: 0
    .symbol:         _Z16operation_kernelIiLj256ELj2EL23memory_operation_method0E9operationIL16kernel_operation3EiLj2ELj256EEEvPT_S5_T3_.kd
    .uniform_work_group_size: 1
    .uses_dynamic_stack: false
    .vgpr_count:     6
    .vgpr_spill_count: 0
    .wavefront_size: 64
  - .agpr_count:     0
    .args:
      - .address_space:  global
        .offset:         0
        .size:           8
        .value_kind:     global_buffer
      - .address_space:  global
        .offset:         8
        .size:           8
        .value_kind:     global_buffer
      - .offset:         16
        .size:           1
        .value_kind:     by_value
      - .offset:         24
        .size:           4
        .value_kind:     hidden_block_count_x
      - .offset:         28
        .size:           4
        .value_kind:     hidden_block_count_y
      - .offset:         32
        .size:           4
        .value_kind:     hidden_block_count_z
      - .offset:         36
        .size:           2
        .value_kind:     hidden_group_size_x
      - .offset:         38
        .size:           2
        .value_kind:     hidden_group_size_y
      - .offset:         40
        .size:           2
        .value_kind:     hidden_group_size_z
      - .offset:         42
        .size:           2
        .value_kind:     hidden_remainder_x
      - .offset:         44
        .size:           2
        .value_kind:     hidden_remainder_y
      - .offset:         46
        .size:           2
        .value_kind:     hidden_remainder_z
      - .offset:         64
        .size:           8
        .value_kind:     hidden_global_offset_x
      - .offset:         72
        .size:           8
        .value_kind:     hidden_global_offset_y
      - .offset:         80
        .size:           8
        .value_kind:     hidden_global_offset_z
      - .offset:         88
        .size:           2
        .value_kind:     hidden_grid_dims
    .group_segment_fixed_size: 0
    .kernarg_segment_align: 8
    .kernarg_segment_size: 280
    .language:       OpenCL C
    .language_version:
      - 2
      - 0
    .max_flat_workgroup_size: 256
    .name:           _Z16operation_kernelIiLj256ELj4EL23memory_operation_method0E9operationIL16kernel_operation3EiLj4ELj256EEEvPT_S5_T3_
    .private_segment_fixed_size: 0
    .sgpr_count:     12
    .sgpr_spill_count: 0
    .symbol:         _Z16operation_kernelIiLj256ELj4EL23memory_operation_method0E9operationIL16kernel_operation3EiLj4ELj256EEEvPT_S5_T3_.kd
    .uniform_work_group_size: 1
    .uses_dynamic_stack: false
    .vgpr_count:     8
    .vgpr_spill_count: 0
    .wavefront_size: 64
  - .agpr_count:     0
    .args:
      - .address_space:  global
        .offset:         0
        .size:           8
        .value_kind:     global_buffer
      - .address_space:  global
        .offset:         8
        .size:           8
        .value_kind:     global_buffer
      - .offset:         16
        .size:           1
        .value_kind:     by_value
      - .offset:         24
        .size:           4
        .value_kind:     hidden_block_count_x
      - .offset:         28
        .size:           4
        .value_kind:     hidden_block_count_y
      - .offset:         32
        .size:           4
        .value_kind:     hidden_block_count_z
      - .offset:         36
        .size:           2
        .value_kind:     hidden_group_size_x
      - .offset:         38
        .size:           2
        .value_kind:     hidden_group_size_y
      - .offset:         40
        .size:           2
        .value_kind:     hidden_group_size_z
      - .offset:         42
        .size:           2
        .value_kind:     hidden_remainder_x
      - .offset:         44
        .size:           2
        .value_kind:     hidden_remainder_y
      - .offset:         46
        .size:           2
        .value_kind:     hidden_remainder_z
      - .offset:         64
        .size:           8
        .value_kind:     hidden_global_offset_x
      - .offset:         72
        .size:           8
        .value_kind:     hidden_global_offset_y
      - .offset:         80
        .size:           8
        .value_kind:     hidden_global_offset_z
      - .offset:         88
        .size:           2
        .value_kind:     hidden_grid_dims
    .group_segment_fixed_size: 0
    .kernarg_segment_align: 8
    .kernarg_segment_size: 280
    .language:       OpenCL C
    .language_version:
      - 2
      - 0
    .max_flat_workgroup_size: 256
    .name:           _Z16operation_kernelIiLj256ELj8EL23memory_operation_method0E9operationIL16kernel_operation3EiLj8ELj256EEEvPT_S5_T3_
    .private_segment_fixed_size: 0
    .sgpr_count:     12
    .sgpr_spill_count: 0
    .symbol:         _Z16operation_kernelIiLj256ELj8EL23memory_operation_method0E9operationIL16kernel_operation3EiLj8ELj256EEEvPT_S5_T3_.kd
    .uniform_work_group_size: 1
    .uses_dynamic_stack: false
    .vgpr_count:     12
    .vgpr_spill_count: 0
    .wavefront_size: 64
  - .agpr_count:     0
    .args:
      - .address_space:  global
        .offset:         0
        .size:           8
        .value_kind:     global_buffer
      - .address_space:  global
        .offset:         8
        .size:           8
        .value_kind:     global_buffer
      - .offset:         16
        .size:           1
        .value_kind:     by_value
      - .offset:         24
        .size:           4
        .value_kind:     hidden_block_count_x
      - .offset:         28
        .size:           4
        .value_kind:     hidden_block_count_y
      - .offset:         32
        .size:           4
        .value_kind:     hidden_block_count_z
      - .offset:         36
        .size:           2
        .value_kind:     hidden_group_size_x
      - .offset:         38
        .size:           2
        .value_kind:     hidden_group_size_y
      - .offset:         40
        .size:           2
        .value_kind:     hidden_group_size_z
      - .offset:         42
        .size:           2
        .value_kind:     hidden_remainder_x
      - .offset:         44
        .size:           2
        .value_kind:     hidden_remainder_y
      - .offset:         46
        .size:           2
        .value_kind:     hidden_remainder_z
      - .offset:         64
        .size:           8
        .value_kind:     hidden_global_offset_x
      - .offset:         72
        .size:           8
        .value_kind:     hidden_global_offset_y
      - .offset:         80
        .size:           8
        .value_kind:     hidden_global_offset_z
      - .offset:         88
        .size:           2
        .value_kind:     hidden_grid_dims
    .group_segment_fixed_size: 0
    .kernarg_segment_align: 8
    .kernarg_segment_size: 280
    .language:       OpenCL C
    .language_version:
      - 2
      - 0
    .max_flat_workgroup_size: 256
    .name:           _Z16operation_kernelIiLj256ELj1EL23memory_operation_method1E9operationIL16kernel_operation3EiLj1ELj256EEEvPT_S5_T3_
    .private_segment_fixed_size: 0
    .sgpr_count:     12
    .sgpr_spill_count: 0
    .symbol:         _Z16operation_kernelIiLj256ELj1EL23memory_operation_method1E9operationIL16kernel_operation3EiLj1ELj256EEEvPT_S5_T3_.kd
    .uniform_work_group_size: 1
    .uses_dynamic_stack: false
    .vgpr_count:     5
    .vgpr_spill_count: 0
    .wavefront_size: 64
  - .agpr_count:     0
    .args:
      - .address_space:  global
        .offset:         0
        .size:           8
        .value_kind:     global_buffer
      - .address_space:  global
        .offset:         8
        .size:           8
        .value_kind:     global_buffer
      - .offset:         16
        .size:           1
        .value_kind:     by_value
      - .offset:         24
        .size:           4
        .value_kind:     hidden_block_count_x
      - .offset:         28
        .size:           4
        .value_kind:     hidden_block_count_y
      - .offset:         32
        .size:           4
        .value_kind:     hidden_block_count_z
      - .offset:         36
        .size:           2
        .value_kind:     hidden_group_size_x
      - .offset:         38
        .size:           2
        .value_kind:     hidden_group_size_y
      - .offset:         40
        .size:           2
        .value_kind:     hidden_group_size_z
      - .offset:         42
        .size:           2
        .value_kind:     hidden_remainder_x
      - .offset:         44
        .size:           2
        .value_kind:     hidden_remainder_y
      - .offset:         46
        .size:           2
        .value_kind:     hidden_remainder_z
      - .offset:         64
        .size:           8
        .value_kind:     hidden_global_offset_x
      - .offset:         72
        .size:           8
        .value_kind:     hidden_global_offset_y
      - .offset:         80
        .size:           8
        .value_kind:     hidden_global_offset_z
      - .offset:         88
        .size:           2
        .value_kind:     hidden_grid_dims
    .group_segment_fixed_size: 0
    .kernarg_segment_align: 8
    .kernarg_segment_size: 280
    .language:       OpenCL C
    .language_version:
      - 2
      - 0
    .max_flat_workgroup_size: 256
    .name:           _Z16operation_kernelIiLj256ELj2EL23memory_operation_method1E9operationIL16kernel_operation3EiLj2ELj256EEEvPT_S5_T3_
    .private_segment_fixed_size: 0
    .sgpr_count:     12
    .sgpr_spill_count: 0
    .symbol:         _Z16operation_kernelIiLj256ELj2EL23memory_operation_method1E9operationIL16kernel_operation3EiLj2ELj256EEEvPT_S5_T3_.kd
    .uniform_work_group_size: 1
    .uses_dynamic_stack: false
    .vgpr_count:     6
    .vgpr_spill_count: 0
    .wavefront_size: 64
  - .agpr_count:     0
    .args:
      - .address_space:  global
        .offset:         0
        .size:           8
        .value_kind:     global_buffer
      - .address_space:  global
        .offset:         8
        .size:           8
        .value_kind:     global_buffer
      - .offset:         16
        .size:           1
        .value_kind:     by_value
      - .offset:         24
        .size:           4
        .value_kind:     hidden_block_count_x
      - .offset:         28
        .size:           4
        .value_kind:     hidden_block_count_y
      - .offset:         32
        .size:           4
        .value_kind:     hidden_block_count_z
      - .offset:         36
        .size:           2
        .value_kind:     hidden_group_size_x
      - .offset:         38
        .size:           2
        .value_kind:     hidden_group_size_y
      - .offset:         40
        .size:           2
        .value_kind:     hidden_group_size_z
      - .offset:         42
        .size:           2
        .value_kind:     hidden_remainder_x
      - .offset:         44
        .size:           2
        .value_kind:     hidden_remainder_y
      - .offset:         46
        .size:           2
        .value_kind:     hidden_remainder_z
      - .offset:         64
        .size:           8
        .value_kind:     hidden_global_offset_x
      - .offset:         72
        .size:           8
        .value_kind:     hidden_global_offset_y
      - .offset:         80
        .size:           8
        .value_kind:     hidden_global_offset_z
      - .offset:         88
        .size:           2
        .value_kind:     hidden_grid_dims
    .group_segment_fixed_size: 0
    .kernarg_segment_align: 8
    .kernarg_segment_size: 280
    .language:       OpenCL C
    .language_version:
      - 2
      - 0
    .max_flat_workgroup_size: 256
    .name:           _Z16operation_kernelIiLj256ELj4EL23memory_operation_method1E9operationIL16kernel_operation3EiLj4ELj256EEEvPT_S5_T3_
    .private_segment_fixed_size: 0
    .sgpr_count:     12
    .sgpr_spill_count: 0
    .symbol:         _Z16operation_kernelIiLj256ELj4EL23memory_operation_method1E9operationIL16kernel_operation3EiLj4ELj256EEEvPT_S5_T3_.kd
    .uniform_work_group_size: 1
    .uses_dynamic_stack: false
    .vgpr_count:     8
    .vgpr_spill_count: 0
    .wavefront_size: 64
  - .agpr_count:     0
    .args:
      - .address_space:  global
        .offset:         0
        .size:           8
        .value_kind:     global_buffer
      - .address_space:  global
        .offset:         8
        .size:           8
        .value_kind:     global_buffer
      - .offset:         16
        .size:           1
        .value_kind:     by_value
      - .offset:         24
        .size:           4
        .value_kind:     hidden_block_count_x
      - .offset:         28
        .size:           4
        .value_kind:     hidden_block_count_y
      - .offset:         32
        .size:           4
        .value_kind:     hidden_block_count_z
      - .offset:         36
        .size:           2
        .value_kind:     hidden_group_size_x
      - .offset:         38
        .size:           2
        .value_kind:     hidden_group_size_y
      - .offset:         40
        .size:           2
        .value_kind:     hidden_group_size_z
      - .offset:         42
        .size:           2
        .value_kind:     hidden_remainder_x
      - .offset:         44
        .size:           2
        .value_kind:     hidden_remainder_y
      - .offset:         46
        .size:           2
        .value_kind:     hidden_remainder_z
      - .offset:         64
        .size:           8
        .value_kind:     hidden_global_offset_x
      - .offset:         72
        .size:           8
        .value_kind:     hidden_global_offset_y
      - .offset:         80
        .size:           8
        .value_kind:     hidden_global_offset_z
      - .offset:         88
        .size:           2
        .value_kind:     hidden_grid_dims
    .group_segment_fixed_size: 0
    .kernarg_segment_align: 8
    .kernarg_segment_size: 280
    .language:       OpenCL C
    .language_version:
      - 2
      - 0
    .max_flat_workgroup_size: 256
    .name:           _Z16operation_kernelIiLj256ELj8EL23memory_operation_method1E9operationIL16kernel_operation3EiLj8ELj256EEEvPT_S5_T3_
    .private_segment_fixed_size: 0
    .sgpr_count:     13
    .sgpr_spill_count: 0
    .symbol:         _Z16operation_kernelIiLj256ELj8EL23memory_operation_method1E9operationIL16kernel_operation3EiLj8ELj256EEEvPT_S5_T3_.kd
    .uniform_work_group_size: 1
    .uses_dynamic_stack: false
    .vgpr_count:     13
    .vgpr_spill_count: 0
    .wavefront_size: 64
  - .agpr_count:     0
    .args:
      - .address_space:  global
        .offset:         0
        .size:           8
        .value_kind:     global_buffer
      - .address_space:  global
        .offset:         8
        .size:           8
        .value_kind:     global_buffer
      - .offset:         16
        .size:           1
        .value_kind:     by_value
      - .offset:         24
        .size:           4
        .value_kind:     hidden_block_count_x
      - .offset:         28
        .size:           4
        .value_kind:     hidden_block_count_y
      - .offset:         32
        .size:           4
        .value_kind:     hidden_block_count_z
      - .offset:         36
        .size:           2
        .value_kind:     hidden_group_size_x
      - .offset:         38
        .size:           2
        .value_kind:     hidden_group_size_y
      - .offset:         40
        .size:           2
        .value_kind:     hidden_group_size_z
      - .offset:         42
        .size:           2
        .value_kind:     hidden_remainder_x
      - .offset:         44
        .size:           2
        .value_kind:     hidden_remainder_y
      - .offset:         46
        .size:           2
        .value_kind:     hidden_remainder_z
      - .offset:         64
        .size:           8
        .value_kind:     hidden_global_offset_x
      - .offset:         72
        .size:           8
        .value_kind:     hidden_global_offset_y
      - .offset:         80
        .size:           8
        .value_kind:     hidden_global_offset_z
      - .offset:         88
        .size:           2
        .value_kind:     hidden_grid_dims
    .group_segment_fixed_size: 0
    .kernarg_segment_align: 8
    .kernarg_segment_size: 280
    .language:       OpenCL C
    .language_version:
      - 2
      - 0
    .max_flat_workgroup_size: 256
    .name:           _Z16operation_kernelIiLj256ELj1EL23memory_operation_method2E9operationIL16kernel_operation3EiLj1ELj256EEEvPT_S5_T3_
    .private_segment_fixed_size: 0
    .sgpr_count:     12
    .sgpr_spill_count: 0
    .symbol:         _Z16operation_kernelIiLj256ELj1EL23memory_operation_method2E9operationIL16kernel_operation3EiLj1ELj256EEEvPT_S5_T3_.kd
    .uniform_work_group_size: 1
    .uses_dynamic_stack: false
    .vgpr_count:     5
    .vgpr_spill_count: 0
    .wavefront_size: 64
  - .agpr_count:     0
    .args:
      - .address_space:  global
        .offset:         0
        .size:           8
        .value_kind:     global_buffer
      - .address_space:  global
        .offset:         8
        .size:           8
        .value_kind:     global_buffer
      - .offset:         16
        .size:           1
        .value_kind:     by_value
      - .offset:         24
        .size:           4
        .value_kind:     hidden_block_count_x
      - .offset:         28
        .size:           4
        .value_kind:     hidden_block_count_y
      - .offset:         32
        .size:           4
        .value_kind:     hidden_block_count_z
      - .offset:         36
        .size:           2
        .value_kind:     hidden_group_size_x
      - .offset:         38
        .size:           2
        .value_kind:     hidden_group_size_y
      - .offset:         40
        .size:           2
        .value_kind:     hidden_group_size_z
      - .offset:         42
        .size:           2
        .value_kind:     hidden_remainder_x
      - .offset:         44
        .size:           2
        .value_kind:     hidden_remainder_y
      - .offset:         46
        .size:           2
        .value_kind:     hidden_remainder_z
      - .offset:         64
        .size:           8
        .value_kind:     hidden_global_offset_x
      - .offset:         72
        .size:           8
        .value_kind:     hidden_global_offset_y
      - .offset:         80
        .size:           8
        .value_kind:     hidden_global_offset_z
      - .offset:         88
        .size:           2
        .value_kind:     hidden_grid_dims
    .group_segment_fixed_size: 0
    .kernarg_segment_align: 8
    .kernarg_segment_size: 280
    .language:       OpenCL C
    .language_version:
      - 2
      - 0
    .max_flat_workgroup_size: 256
    .name:           _Z16operation_kernelIiLj256ELj2EL23memory_operation_method2E9operationIL16kernel_operation3EiLj2ELj256EEEvPT_S5_T3_
    .private_segment_fixed_size: 0
    .sgpr_count:     12
    .sgpr_spill_count: 0
    .symbol:         _Z16operation_kernelIiLj256ELj2EL23memory_operation_method2E9operationIL16kernel_operation3EiLj2ELj256EEEvPT_S5_T3_.kd
    .uniform_work_group_size: 1
    .uses_dynamic_stack: false
    .vgpr_count:     6
    .vgpr_spill_count: 0
    .wavefront_size: 64
  - .agpr_count:     0
    .args:
      - .address_space:  global
        .offset:         0
        .size:           8
        .value_kind:     global_buffer
      - .address_space:  global
        .offset:         8
        .size:           8
        .value_kind:     global_buffer
      - .offset:         16
        .size:           1
        .value_kind:     by_value
      - .offset:         24
        .size:           4
        .value_kind:     hidden_block_count_x
      - .offset:         28
        .size:           4
        .value_kind:     hidden_block_count_y
      - .offset:         32
        .size:           4
        .value_kind:     hidden_block_count_z
      - .offset:         36
        .size:           2
        .value_kind:     hidden_group_size_x
      - .offset:         38
        .size:           2
        .value_kind:     hidden_group_size_y
      - .offset:         40
        .size:           2
        .value_kind:     hidden_group_size_z
      - .offset:         42
        .size:           2
        .value_kind:     hidden_remainder_x
      - .offset:         44
        .size:           2
        .value_kind:     hidden_remainder_y
      - .offset:         46
        .size:           2
        .value_kind:     hidden_remainder_z
      - .offset:         64
        .size:           8
        .value_kind:     hidden_global_offset_x
      - .offset:         72
        .size:           8
        .value_kind:     hidden_global_offset_y
      - .offset:         80
        .size:           8
        .value_kind:     hidden_global_offset_z
      - .offset:         88
        .size:           2
        .value_kind:     hidden_grid_dims
    .group_segment_fixed_size: 0
    .kernarg_segment_align: 8
    .kernarg_segment_size: 280
    .language:       OpenCL C
    .language_version:
      - 2
      - 0
    .max_flat_workgroup_size: 256
    .name:           _Z16operation_kernelIiLj256ELj4EL23memory_operation_method2E9operationIL16kernel_operation3EiLj4ELj256EEEvPT_S5_T3_
    .private_segment_fixed_size: 0
    .sgpr_count:     12
    .sgpr_spill_count: 0
    .symbol:         _Z16operation_kernelIiLj256ELj4EL23memory_operation_method2E9operationIL16kernel_operation3EiLj4ELj256EEEvPT_S5_T3_.kd
    .uniform_work_group_size: 1
    .uses_dynamic_stack: false
    .vgpr_count:     8
    .vgpr_spill_count: 0
    .wavefront_size: 64
  - .agpr_count:     0
    .args:
      - .address_space:  global
        .offset:         0
        .size:           8
        .value_kind:     global_buffer
      - .address_space:  global
        .offset:         8
        .size:           8
        .value_kind:     global_buffer
      - .offset:         16
        .size:           1
        .value_kind:     by_value
      - .offset:         24
        .size:           4
        .value_kind:     hidden_block_count_x
      - .offset:         28
        .size:           4
        .value_kind:     hidden_block_count_y
      - .offset:         32
        .size:           4
        .value_kind:     hidden_block_count_z
      - .offset:         36
        .size:           2
        .value_kind:     hidden_group_size_x
      - .offset:         38
        .size:           2
        .value_kind:     hidden_group_size_y
      - .offset:         40
        .size:           2
        .value_kind:     hidden_group_size_z
      - .offset:         42
        .size:           2
        .value_kind:     hidden_remainder_x
      - .offset:         44
        .size:           2
        .value_kind:     hidden_remainder_y
      - .offset:         46
        .size:           2
        .value_kind:     hidden_remainder_z
      - .offset:         64
        .size:           8
        .value_kind:     hidden_global_offset_x
      - .offset:         72
        .size:           8
        .value_kind:     hidden_global_offset_y
      - .offset:         80
        .size:           8
        .value_kind:     hidden_global_offset_z
      - .offset:         88
        .size:           2
        .value_kind:     hidden_grid_dims
    .group_segment_fixed_size: 0
    .kernarg_segment_align: 8
    .kernarg_segment_size: 280
    .language:       OpenCL C
    .language_version:
      - 2
      - 0
    .max_flat_workgroup_size: 256
    .name:           _Z16operation_kernelIiLj256ELj8EL23memory_operation_method2E9operationIL16kernel_operation3EiLj8ELj256EEEvPT_S5_T3_
    .private_segment_fixed_size: 0
    .sgpr_count:     12
    .sgpr_spill_count: 0
    .symbol:         _Z16operation_kernelIiLj256ELj8EL23memory_operation_method2E9operationIL16kernel_operation3EiLj8ELj256EEEvPT_S5_T3_.kd
    .uniform_work_group_size: 1
    .uses_dynamic_stack: false
    .vgpr_count:     12
    .vgpr_spill_count: 0
    .wavefront_size: 64
  - .agpr_count:     0
    .args:
      - .address_space:  global
        .offset:         0
        .size:           8
        .value_kind:     global_buffer
      - .address_space:  global
        .offset:         8
        .size:           8
        .value_kind:     global_buffer
      - .offset:         16
        .size:           1
        .value_kind:     by_value
      - .offset:         24
        .size:           4
        .value_kind:     hidden_block_count_x
      - .offset:         28
        .size:           4
        .value_kind:     hidden_block_count_y
      - .offset:         32
        .size:           4
        .value_kind:     hidden_block_count_z
      - .offset:         36
        .size:           2
        .value_kind:     hidden_group_size_x
      - .offset:         38
        .size:           2
        .value_kind:     hidden_group_size_y
      - .offset:         40
        .size:           2
        .value_kind:     hidden_group_size_z
      - .offset:         42
        .size:           2
        .value_kind:     hidden_remainder_x
      - .offset:         44
        .size:           2
        .value_kind:     hidden_remainder_y
      - .offset:         46
        .size:           2
        .value_kind:     hidden_remainder_z
      - .offset:         64
        .size:           8
        .value_kind:     hidden_global_offset_x
      - .offset:         72
        .size:           8
        .value_kind:     hidden_global_offset_y
      - .offset:         80
        .size:           8
        .value_kind:     hidden_global_offset_z
      - .offset:         88
        .size:           2
        .value_kind:     hidden_grid_dims
    .group_segment_fixed_size: 1024
    .kernarg_segment_align: 8
    .kernarg_segment_size: 280
    .language:       OpenCL C
    .language_version:
      - 2
      - 0
    .max_flat_workgroup_size: 256
    .name:           _Z16operation_kernelIiLj256ELj1EL23memory_operation_method3E9operationIL16kernel_operation3EiLj1ELj256EEEvPT_S5_T3_
    .private_segment_fixed_size: 0
    .sgpr_count:     12
    .sgpr_spill_count: 0
    .symbol:         _Z16operation_kernelIiLj256ELj1EL23memory_operation_method3E9operationIL16kernel_operation3EiLj1ELj256EEEvPT_S5_T3_.kd
    .uniform_work_group_size: 1
    .uses_dynamic_stack: false
    .vgpr_count:     6
    .vgpr_spill_count: 0
    .wavefront_size: 64
  - .agpr_count:     0
    .args:
      - .address_space:  global
        .offset:         0
        .size:           8
        .value_kind:     global_buffer
      - .address_space:  global
        .offset:         8
        .size:           8
        .value_kind:     global_buffer
      - .offset:         16
        .size:           1
        .value_kind:     by_value
      - .offset:         24
        .size:           4
        .value_kind:     hidden_block_count_x
      - .offset:         28
        .size:           4
        .value_kind:     hidden_block_count_y
      - .offset:         32
        .size:           4
        .value_kind:     hidden_block_count_z
      - .offset:         36
        .size:           2
        .value_kind:     hidden_group_size_x
      - .offset:         38
        .size:           2
        .value_kind:     hidden_group_size_y
      - .offset:         40
        .size:           2
        .value_kind:     hidden_group_size_z
      - .offset:         42
        .size:           2
        .value_kind:     hidden_remainder_x
      - .offset:         44
        .size:           2
        .value_kind:     hidden_remainder_y
      - .offset:         46
        .size:           2
        .value_kind:     hidden_remainder_z
      - .offset:         64
        .size:           8
        .value_kind:     hidden_global_offset_x
      - .offset:         72
        .size:           8
        .value_kind:     hidden_global_offset_y
      - .offset:         80
        .size:           8
        .value_kind:     hidden_global_offset_z
      - .offset:         88
        .size:           2
        .value_kind:     hidden_grid_dims
    .group_segment_fixed_size: 2112
    .kernarg_segment_align: 8
    .kernarg_segment_size: 280
    .language:       OpenCL C
    .language_version:
      - 2
      - 0
    .max_flat_workgroup_size: 256
    .name:           _Z16operation_kernelIiLj256ELj2EL23memory_operation_method3E9operationIL16kernel_operation3EiLj2ELj256EEEvPT_S5_T3_
    .private_segment_fixed_size: 0
    .sgpr_count:     12
    .sgpr_spill_count: 0
    .symbol:         _Z16operation_kernelIiLj256ELj2EL23memory_operation_method3E9operationIL16kernel_operation3EiLj2ELj256EEEvPT_S5_T3_.kd
    .uniform_work_group_size: 1
    .uses_dynamic_stack: false
    .vgpr_count:     10
    .vgpr_spill_count: 0
    .wavefront_size: 64
  - .agpr_count:     0
    .args:
      - .address_space:  global
        .offset:         0
        .size:           8
        .value_kind:     global_buffer
      - .address_space:  global
        .offset:         8
        .size:           8
        .value_kind:     global_buffer
      - .offset:         16
        .size:           1
        .value_kind:     by_value
      - .offset:         24
        .size:           4
        .value_kind:     hidden_block_count_x
      - .offset:         28
        .size:           4
        .value_kind:     hidden_block_count_y
      - .offset:         32
        .size:           4
        .value_kind:     hidden_block_count_z
      - .offset:         36
        .size:           2
        .value_kind:     hidden_group_size_x
      - .offset:         38
        .size:           2
        .value_kind:     hidden_group_size_y
      - .offset:         40
        .size:           2
        .value_kind:     hidden_group_size_z
      - .offset:         42
        .size:           2
        .value_kind:     hidden_remainder_x
      - .offset:         44
        .size:           2
        .value_kind:     hidden_remainder_y
      - .offset:         46
        .size:           2
        .value_kind:     hidden_remainder_z
      - .offset:         64
        .size:           8
        .value_kind:     hidden_global_offset_x
      - .offset:         72
        .size:           8
        .value_kind:     hidden_global_offset_y
      - .offset:         80
        .size:           8
        .value_kind:     hidden_global_offset_z
      - .offset:         88
        .size:           2
        .value_kind:     hidden_grid_dims
    .group_segment_fixed_size: 4224
    .kernarg_segment_align: 8
    .kernarg_segment_size: 280
    .language:       OpenCL C
    .language_version:
      - 2
      - 0
    .max_flat_workgroup_size: 256
    .name:           _Z16operation_kernelIiLj256ELj4EL23memory_operation_method3E9operationIL16kernel_operation3EiLj4ELj256EEEvPT_S5_T3_
    .private_segment_fixed_size: 0
    .sgpr_count:     12
    .sgpr_spill_count: 0
    .symbol:         _Z16operation_kernelIiLj256ELj4EL23memory_operation_method3E9operationIL16kernel_operation3EiLj4ELj256EEEvPT_S5_T3_.kd
    .uniform_work_group_size: 1
    .uses_dynamic_stack: false
    .vgpr_count:     14
    .vgpr_spill_count: 0
    .wavefront_size: 64
  - .agpr_count:     0
    .args:
      - .address_space:  global
        .offset:         0
        .size:           8
        .value_kind:     global_buffer
      - .address_space:  global
        .offset:         8
        .size:           8
        .value_kind:     global_buffer
      - .offset:         16
        .size:           1
        .value_kind:     by_value
      - .offset:         24
        .size:           4
        .value_kind:     hidden_block_count_x
      - .offset:         28
        .size:           4
        .value_kind:     hidden_block_count_y
      - .offset:         32
        .size:           4
        .value_kind:     hidden_block_count_z
      - .offset:         36
        .size:           2
        .value_kind:     hidden_group_size_x
      - .offset:         38
        .size:           2
        .value_kind:     hidden_group_size_y
      - .offset:         40
        .size:           2
        .value_kind:     hidden_group_size_z
      - .offset:         42
        .size:           2
        .value_kind:     hidden_remainder_x
      - .offset:         44
        .size:           2
        .value_kind:     hidden_remainder_y
      - .offset:         46
        .size:           2
        .value_kind:     hidden_remainder_z
      - .offset:         64
        .size:           8
        .value_kind:     hidden_global_offset_x
      - .offset:         72
        .size:           8
        .value_kind:     hidden_global_offset_y
      - .offset:         80
        .size:           8
        .value_kind:     hidden_global_offset_z
      - .offset:         88
        .size:           2
        .value_kind:     hidden_grid_dims
    .group_segment_fixed_size: 8448
    .kernarg_segment_align: 8
    .kernarg_segment_size: 280
    .language:       OpenCL C
    .language_version:
      - 2
      - 0
    .max_flat_workgroup_size: 256
    .name:           _Z16operation_kernelIiLj256ELj8EL23memory_operation_method3E9operationIL16kernel_operation3EiLj8ELj256EEEvPT_S5_T3_
    .private_segment_fixed_size: 0
    .sgpr_count:     13
    .sgpr_spill_count: 0
    .symbol:         _Z16operation_kernelIiLj256ELj8EL23memory_operation_method3E9operationIL16kernel_operation3EiLj8ELj256EEEvPT_S5_T3_.kd
    .uniform_work_group_size: 1
    .uses_dynamic_stack: false
    .vgpr_count:     23
    .vgpr_spill_count: 0
    .wavefront_size: 64
  - .agpr_count:     0
    .args:
      - .address_space:  global
        .offset:         0
        .size:           8
        .value_kind:     global_buffer
      - .address_space:  global
        .offset:         8
        .size:           8
        .value_kind:     global_buffer
      - .offset:         16
        .size:           1
        .value_kind:     by_value
      - .offset:         24
        .size:           4
        .value_kind:     hidden_block_count_x
      - .offset:         28
        .size:           4
        .value_kind:     hidden_block_count_y
      - .offset:         32
        .size:           4
        .value_kind:     hidden_block_count_z
      - .offset:         36
        .size:           2
        .value_kind:     hidden_group_size_x
      - .offset:         38
        .size:           2
        .value_kind:     hidden_group_size_y
      - .offset:         40
        .size:           2
        .value_kind:     hidden_group_size_z
      - .offset:         42
        .size:           2
        .value_kind:     hidden_remainder_x
      - .offset:         44
        .size:           2
        .value_kind:     hidden_remainder_y
      - .offset:         46
        .size:           2
        .value_kind:     hidden_remainder_z
      - .offset:         64
        .size:           8
        .value_kind:     hidden_global_offset_x
      - .offset:         72
        .size:           8
        .value_kind:     hidden_global_offset_y
      - .offset:         80
        .size:           8
        .value_kind:     hidden_global_offset_z
      - .offset:         88
        .size:           2
        .value_kind:     hidden_grid_dims
    .group_segment_fixed_size: 1024
    .kernarg_segment_align: 8
    .kernarg_segment_size: 280
    .language:       OpenCL C
    .language_version:
      - 2
      - 0
    .max_flat_workgroup_size: 256
    .name:           _Z16operation_kernelIiLj256ELj1EL23memory_operation_method4E9operationIL16kernel_operation3EiLj1ELj256EEEvPT_S5_T3_
    .private_segment_fixed_size: 0
    .sgpr_count:     12
    .sgpr_spill_count: 0
    .symbol:         _Z16operation_kernelIiLj256ELj1EL23memory_operation_method4E9operationIL16kernel_operation3EiLj1ELj256EEEvPT_S5_T3_.kd
    .uniform_work_group_size: 1
    .uses_dynamic_stack: false
    .vgpr_count:     8
    .vgpr_spill_count: 0
    .wavefront_size: 64
  - .agpr_count:     0
    .args:
      - .address_space:  global
        .offset:         0
        .size:           8
        .value_kind:     global_buffer
      - .address_space:  global
        .offset:         8
        .size:           8
        .value_kind:     global_buffer
      - .offset:         16
        .size:           1
        .value_kind:     by_value
      - .offset:         24
        .size:           4
        .value_kind:     hidden_block_count_x
      - .offset:         28
        .size:           4
        .value_kind:     hidden_block_count_y
      - .offset:         32
        .size:           4
        .value_kind:     hidden_block_count_z
      - .offset:         36
        .size:           2
        .value_kind:     hidden_group_size_x
      - .offset:         38
        .size:           2
        .value_kind:     hidden_group_size_y
      - .offset:         40
        .size:           2
        .value_kind:     hidden_group_size_z
      - .offset:         42
        .size:           2
        .value_kind:     hidden_remainder_x
      - .offset:         44
        .size:           2
        .value_kind:     hidden_remainder_y
      - .offset:         46
        .size:           2
        .value_kind:     hidden_remainder_z
      - .offset:         64
        .size:           8
        .value_kind:     hidden_global_offset_x
      - .offset:         72
        .size:           8
        .value_kind:     hidden_global_offset_y
      - .offset:         80
        .size:           8
        .value_kind:     hidden_global_offset_z
      - .offset:         88
        .size:           2
        .value_kind:     hidden_grid_dims
    .group_segment_fixed_size: 2112
    .kernarg_segment_align: 8
    .kernarg_segment_size: 280
    .language:       OpenCL C
    .language_version:
      - 2
      - 0
    .max_flat_workgroup_size: 256
    .name:           _Z16operation_kernelIiLj256ELj2EL23memory_operation_method4E9operationIL16kernel_operation3EiLj2ELj256EEEvPT_S5_T3_
    .private_segment_fixed_size: 0
    .sgpr_count:     12
    .sgpr_spill_count: 0
    .symbol:         _Z16operation_kernelIiLj256ELj2EL23memory_operation_method4E9operationIL16kernel_operation3EiLj2ELj256EEEvPT_S5_T3_.kd
    .uniform_work_group_size: 1
    .uses_dynamic_stack: false
    .vgpr_count:     12
    .vgpr_spill_count: 0
    .wavefront_size: 64
  - .agpr_count:     0
    .args:
      - .address_space:  global
        .offset:         0
        .size:           8
        .value_kind:     global_buffer
      - .address_space:  global
        .offset:         8
        .size:           8
        .value_kind:     global_buffer
      - .offset:         16
        .size:           1
        .value_kind:     by_value
      - .offset:         24
        .size:           4
        .value_kind:     hidden_block_count_x
      - .offset:         28
        .size:           4
        .value_kind:     hidden_block_count_y
      - .offset:         32
        .size:           4
        .value_kind:     hidden_block_count_z
      - .offset:         36
        .size:           2
        .value_kind:     hidden_group_size_x
      - .offset:         38
        .size:           2
        .value_kind:     hidden_group_size_y
      - .offset:         40
        .size:           2
        .value_kind:     hidden_group_size_z
      - .offset:         42
        .size:           2
        .value_kind:     hidden_remainder_x
      - .offset:         44
        .size:           2
        .value_kind:     hidden_remainder_y
      - .offset:         46
        .size:           2
        .value_kind:     hidden_remainder_z
      - .offset:         64
        .size:           8
        .value_kind:     hidden_global_offset_x
      - .offset:         72
        .size:           8
        .value_kind:     hidden_global_offset_y
      - .offset:         80
        .size:           8
        .value_kind:     hidden_global_offset_z
      - .offset:         88
        .size:           2
        .value_kind:     hidden_grid_dims
    .group_segment_fixed_size: 4224
    .kernarg_segment_align: 8
    .kernarg_segment_size: 280
    .language:       OpenCL C
    .language_version:
      - 2
      - 0
    .max_flat_workgroup_size: 256
    .name:           _Z16operation_kernelIiLj256ELj4EL23memory_operation_method4E9operationIL16kernel_operation3EiLj4ELj256EEEvPT_S5_T3_
    .private_segment_fixed_size: 0
    .sgpr_count:     12
    .sgpr_spill_count: 0
    .symbol:         _Z16operation_kernelIiLj256ELj4EL23memory_operation_method4E9operationIL16kernel_operation3EiLj4ELj256EEEvPT_S5_T3_.kd
    .uniform_work_group_size: 1
    .uses_dynamic_stack: false
    .vgpr_count:     18
    .vgpr_spill_count: 0
    .wavefront_size: 64
  - .agpr_count:     0
    .args:
      - .address_space:  global
        .offset:         0
        .size:           8
        .value_kind:     global_buffer
      - .address_space:  global
        .offset:         8
        .size:           8
        .value_kind:     global_buffer
      - .offset:         16
        .size:           1
        .value_kind:     by_value
      - .offset:         24
        .size:           4
        .value_kind:     hidden_block_count_x
      - .offset:         28
        .size:           4
        .value_kind:     hidden_block_count_y
      - .offset:         32
        .size:           4
        .value_kind:     hidden_block_count_z
      - .offset:         36
        .size:           2
        .value_kind:     hidden_group_size_x
      - .offset:         38
        .size:           2
        .value_kind:     hidden_group_size_y
      - .offset:         40
        .size:           2
        .value_kind:     hidden_group_size_z
      - .offset:         42
        .size:           2
        .value_kind:     hidden_remainder_x
      - .offset:         44
        .size:           2
        .value_kind:     hidden_remainder_y
      - .offset:         46
        .size:           2
        .value_kind:     hidden_remainder_z
      - .offset:         64
        .size:           8
        .value_kind:     hidden_global_offset_x
      - .offset:         72
        .size:           8
        .value_kind:     hidden_global_offset_y
      - .offset:         80
        .size:           8
        .value_kind:     hidden_global_offset_z
      - .offset:         88
        .size:           2
        .value_kind:     hidden_grid_dims
    .group_segment_fixed_size: 8448
    .kernarg_segment_align: 8
    .kernarg_segment_size: 280
    .language:       OpenCL C
    .language_version:
      - 2
      - 0
    .max_flat_workgroup_size: 256
    .name:           _Z16operation_kernelIiLj256ELj8EL23memory_operation_method4E9operationIL16kernel_operation3EiLj8ELj256EEEvPT_S5_T3_
    .private_segment_fixed_size: 0
    .sgpr_count:     12
    .sgpr_spill_count: 0
    .symbol:         _Z16operation_kernelIiLj256ELj8EL23memory_operation_method4E9operationIL16kernel_operation3EiLj8ELj256EEEvPT_S5_T3_.kd
    .uniform_work_group_size: 1
    .uses_dynamic_stack: false
    .vgpr_count:     29
    .vgpr_spill_count: 0
    .wavefront_size: 64
  - .agpr_count:     0
    .args:
      - .address_space:  global
        .offset:         0
        .size:           8
        .value_kind:     global_buffer
      - .address_space:  global
        .offset:         8
        .size:           8
        .value_kind:     global_buffer
      - .offset:         16
        .size:           1
        .value_kind:     by_value
    .group_segment_fixed_size: 0
    .kernarg_segment_align: 8
    .kernarg_segment_size: 20
    .language:       OpenCL C
    .language_version:
      - 2
      - 0
    .max_flat_workgroup_size: 256
    .name:           _Z16operation_kernelIiLj256ELj1EL23memory_operation_method0E9operationIL16kernel_operation4EiLj1ELj256EEEvPT_S5_T3_
    .private_segment_fixed_size: 0
    .sgpr_count:     11
    .sgpr_spill_count: 0
    .symbol:         _Z16operation_kernelIiLj256ELj1EL23memory_operation_method0E9operationIL16kernel_operation4EiLj1ELj256EEEvPT_S5_T3_.kd
    .uniform_work_group_size: 1
    .uses_dynamic_stack: false
    .vgpr_count:     3
    .vgpr_spill_count: 0
    .wavefront_size: 64
  - .agpr_count:     0
    .args:
      - .address_space:  global
        .offset:         0
        .size:           8
        .value_kind:     global_buffer
      - .address_space:  global
        .offset:         8
        .size:           8
        .value_kind:     global_buffer
      - .offset:         16
        .size:           1
        .value_kind:     by_value
    .group_segment_fixed_size: 0
    .kernarg_segment_align: 8
    .kernarg_segment_size: 20
    .language:       OpenCL C
    .language_version:
      - 2
      - 0
    .max_flat_workgroup_size: 256
    .name:           _Z16operation_kernelIiLj256ELj2EL23memory_operation_method0E9operationIL16kernel_operation4EiLj2ELj256EEEvPT_S5_T3_
    .private_segment_fixed_size: 0
    .sgpr_count:     11
    .sgpr_spill_count: 0
    .symbol:         _Z16operation_kernelIiLj256ELj2EL23memory_operation_method0E9operationIL16kernel_operation4EiLj2ELj256EEEvPT_S5_T3_.kd
    .uniform_work_group_size: 1
    .uses_dynamic_stack: false
    .vgpr_count:     4
    .vgpr_spill_count: 0
    .wavefront_size: 64
  - .agpr_count:     0
    .args:
      - .address_space:  global
        .offset:         0
        .size:           8
        .value_kind:     global_buffer
      - .address_space:  global
        .offset:         8
        .size:           8
        .value_kind:     global_buffer
      - .offset:         16
        .size:           1
        .value_kind:     by_value
    .group_segment_fixed_size: 0
    .kernarg_segment_align: 8
    .kernarg_segment_size: 20
    .language:       OpenCL C
    .language_version:
      - 2
      - 0
    .max_flat_workgroup_size: 256
    .name:           _Z16operation_kernelIiLj256ELj4EL23memory_operation_method0E9operationIL16kernel_operation4EiLj4ELj256EEEvPT_S5_T3_
    .private_segment_fixed_size: 0
    .sgpr_count:     11
    .sgpr_spill_count: 0
    .symbol:         _Z16operation_kernelIiLj256ELj4EL23memory_operation_method0E9operationIL16kernel_operation4EiLj4ELj256EEEvPT_S5_T3_.kd
    .uniform_work_group_size: 1
    .uses_dynamic_stack: false
    .vgpr_count:     6
    .vgpr_spill_count: 0
    .wavefront_size: 64
  - .agpr_count:     0
    .args:
      - .address_space:  global
        .offset:         0
        .size:           8
        .value_kind:     global_buffer
      - .address_space:  global
        .offset:         8
        .size:           8
        .value_kind:     global_buffer
      - .offset:         16
        .size:           1
        .value_kind:     by_value
    .group_segment_fixed_size: 0
    .kernarg_segment_align: 8
    .kernarg_segment_size: 20
    .language:       OpenCL C
    .language_version:
      - 2
      - 0
    .max_flat_workgroup_size: 256
    .name:           _Z16operation_kernelIiLj256ELj8EL23memory_operation_method0E9operationIL16kernel_operation4EiLj8ELj256EEEvPT_S5_T3_
    .private_segment_fixed_size: 0
    .sgpr_count:     11
    .sgpr_spill_count: 0
    .symbol:         _Z16operation_kernelIiLj256ELj8EL23memory_operation_method0E9operationIL16kernel_operation4EiLj8ELj256EEEvPT_S5_T3_.kd
    .uniform_work_group_size: 1
    .uses_dynamic_stack: false
    .vgpr_count:     10
    .vgpr_spill_count: 0
    .wavefront_size: 64
  - .agpr_count:     0
    .args:
      - .address_space:  global
        .offset:         0
        .size:           8
        .value_kind:     global_buffer
      - .address_space:  global
        .offset:         8
        .size:           8
        .value_kind:     global_buffer
      - .offset:         16
        .size:           1
        .value_kind:     by_value
    .group_segment_fixed_size: 0
    .kernarg_segment_align: 8
    .kernarg_segment_size: 20
    .language:       OpenCL C
    .language_version:
      - 2
      - 0
    .max_flat_workgroup_size: 256
    .name:           _Z16operation_kernelIiLj256ELj1EL23memory_operation_method1E9operationIL16kernel_operation4EiLj1ELj256EEEvPT_S5_T3_
    .private_segment_fixed_size: 0
    .sgpr_count:     11
    .sgpr_spill_count: 0
    .symbol:         _Z16operation_kernelIiLj256ELj1EL23memory_operation_method1E9operationIL16kernel_operation4EiLj1ELj256EEEvPT_S5_T3_.kd
    .uniform_work_group_size: 1
    .uses_dynamic_stack: false
    .vgpr_count:     3
    .vgpr_spill_count: 0
    .wavefront_size: 64
  - .agpr_count:     0
    .args:
      - .address_space:  global
        .offset:         0
        .size:           8
        .value_kind:     global_buffer
      - .address_space:  global
        .offset:         8
        .size:           8
        .value_kind:     global_buffer
      - .offset:         16
        .size:           1
        .value_kind:     by_value
    .group_segment_fixed_size: 0
    .kernarg_segment_align: 8
    .kernarg_segment_size: 20
    .language:       OpenCL C
    .language_version:
      - 2
      - 0
    .max_flat_workgroup_size: 256
    .name:           _Z16operation_kernelIiLj256ELj2EL23memory_operation_method1E9operationIL16kernel_operation4EiLj2ELj256EEEvPT_S5_T3_
    .private_segment_fixed_size: 0
    .sgpr_count:     11
    .sgpr_spill_count: 0
    .symbol:         _Z16operation_kernelIiLj256ELj2EL23memory_operation_method1E9operationIL16kernel_operation4EiLj2ELj256EEEvPT_S5_T3_.kd
    .uniform_work_group_size: 1
    .uses_dynamic_stack: false
    .vgpr_count:     5
    .vgpr_spill_count: 0
    .wavefront_size: 64
  - .agpr_count:     0
    .args:
      - .address_space:  global
        .offset:         0
        .size:           8
        .value_kind:     global_buffer
      - .address_space:  global
        .offset:         8
        .size:           8
        .value_kind:     global_buffer
      - .offset:         16
        .size:           1
        .value_kind:     by_value
    .group_segment_fixed_size: 0
    .kernarg_segment_align: 8
    .kernarg_segment_size: 20
    .language:       OpenCL C
    .language_version:
      - 2
      - 0
    .max_flat_workgroup_size: 256
    .name:           _Z16operation_kernelIiLj256ELj4EL23memory_operation_method1E9operationIL16kernel_operation4EiLj4ELj256EEEvPT_S5_T3_
    .private_segment_fixed_size: 0
    .sgpr_count:     11
    .sgpr_spill_count: 0
    .symbol:         _Z16operation_kernelIiLj256ELj4EL23memory_operation_method1E9operationIL16kernel_operation4EiLj4ELj256EEEvPT_S5_T3_.kd
    .uniform_work_group_size: 1
    .uses_dynamic_stack: false
    .vgpr_count:     7
    .vgpr_spill_count: 0
    .wavefront_size: 64
  - .agpr_count:     0
    .args:
      - .address_space:  global
        .offset:         0
        .size:           8
        .value_kind:     global_buffer
      - .address_space:  global
        .offset:         8
        .size:           8
        .value_kind:     global_buffer
      - .offset:         16
        .size:           1
        .value_kind:     by_value
    .group_segment_fixed_size: 0
    .kernarg_segment_align: 8
    .kernarg_segment_size: 20
    .language:       OpenCL C
    .language_version:
      - 2
      - 0
    .max_flat_workgroup_size: 256
    .name:           _Z16operation_kernelIiLj256ELj8EL23memory_operation_method1E9operationIL16kernel_operation4EiLj8ELj256EEEvPT_S5_T3_
    .private_segment_fixed_size: 0
    .sgpr_count:     11
    .sgpr_spill_count: 0
    .symbol:         _Z16operation_kernelIiLj256ELj8EL23memory_operation_method1E9operationIL16kernel_operation4EiLj8ELj256EEEvPT_S5_T3_.kd
    .uniform_work_group_size: 1
    .uses_dynamic_stack: false
    .vgpr_count:     12
    .vgpr_spill_count: 0
    .wavefront_size: 64
  - .agpr_count:     0
    .args:
      - .address_space:  global
        .offset:         0
        .size:           8
        .value_kind:     global_buffer
      - .address_space:  global
        .offset:         8
        .size:           8
        .value_kind:     global_buffer
      - .offset:         16
        .size:           1
        .value_kind:     by_value
    .group_segment_fixed_size: 0
    .kernarg_segment_align: 8
    .kernarg_segment_size: 20
    .language:       OpenCL C
    .language_version:
      - 2
      - 0
    .max_flat_workgroup_size: 256
    .name:           _Z16operation_kernelIiLj256ELj1EL23memory_operation_method2E9operationIL16kernel_operation4EiLj1ELj256EEEvPT_S5_T3_
    .private_segment_fixed_size: 0
    .sgpr_count:     11
    .sgpr_spill_count: 0
    .symbol:         _Z16operation_kernelIiLj256ELj1EL23memory_operation_method2E9operationIL16kernel_operation4EiLj1ELj256EEEvPT_S5_T3_.kd
    .uniform_work_group_size: 1
    .uses_dynamic_stack: false
    .vgpr_count:     3
    .vgpr_spill_count: 0
    .wavefront_size: 64
  - .agpr_count:     0
    .args:
      - .address_space:  global
        .offset:         0
        .size:           8
        .value_kind:     global_buffer
      - .address_space:  global
        .offset:         8
        .size:           8
        .value_kind:     global_buffer
      - .offset:         16
        .size:           1
        .value_kind:     by_value
    .group_segment_fixed_size: 0
    .kernarg_segment_align: 8
    .kernarg_segment_size: 20
    .language:       OpenCL C
    .language_version:
      - 2
      - 0
    .max_flat_workgroup_size: 256
    .name:           _Z16operation_kernelIiLj256ELj2EL23memory_operation_method2E9operationIL16kernel_operation4EiLj2ELj256EEEvPT_S5_T3_
    .private_segment_fixed_size: 0
    .sgpr_count:     11
    .sgpr_spill_count: 0
    .symbol:         _Z16operation_kernelIiLj256ELj2EL23memory_operation_method2E9operationIL16kernel_operation4EiLj2ELj256EEEvPT_S5_T3_.kd
    .uniform_work_group_size: 1
    .uses_dynamic_stack: false
    .vgpr_count:     4
    .vgpr_spill_count: 0
    .wavefront_size: 64
  - .agpr_count:     0
    .args:
      - .address_space:  global
        .offset:         0
        .size:           8
        .value_kind:     global_buffer
      - .address_space:  global
        .offset:         8
        .size:           8
        .value_kind:     global_buffer
      - .offset:         16
        .size:           1
        .value_kind:     by_value
    .group_segment_fixed_size: 0
    .kernarg_segment_align: 8
    .kernarg_segment_size: 20
    .language:       OpenCL C
    .language_version:
      - 2
      - 0
    .max_flat_workgroup_size: 256
    .name:           _Z16operation_kernelIiLj256ELj4EL23memory_operation_method2E9operationIL16kernel_operation4EiLj4ELj256EEEvPT_S5_T3_
    .private_segment_fixed_size: 0
    .sgpr_count:     11
    .sgpr_spill_count: 0
    .symbol:         _Z16operation_kernelIiLj256ELj4EL23memory_operation_method2E9operationIL16kernel_operation4EiLj4ELj256EEEvPT_S5_T3_.kd
    .uniform_work_group_size: 1
    .uses_dynamic_stack: false
    .vgpr_count:     6
    .vgpr_spill_count: 0
    .wavefront_size: 64
  - .agpr_count:     0
    .args:
      - .address_space:  global
        .offset:         0
        .size:           8
        .value_kind:     global_buffer
      - .address_space:  global
        .offset:         8
        .size:           8
        .value_kind:     global_buffer
      - .offset:         16
        .size:           1
        .value_kind:     by_value
    .group_segment_fixed_size: 0
    .kernarg_segment_align: 8
    .kernarg_segment_size: 20
    .language:       OpenCL C
    .language_version:
      - 2
      - 0
    .max_flat_workgroup_size: 256
    .name:           _Z16operation_kernelIiLj256ELj8EL23memory_operation_method2E9operationIL16kernel_operation4EiLj8ELj256EEEvPT_S5_T3_
    .private_segment_fixed_size: 0
    .sgpr_count:     11
    .sgpr_spill_count: 0
    .symbol:         _Z16operation_kernelIiLj256ELj8EL23memory_operation_method2E9operationIL16kernel_operation4EiLj8ELj256EEEvPT_S5_T3_.kd
    .uniform_work_group_size: 1
    .uses_dynamic_stack: false
    .vgpr_count:     10
    .vgpr_spill_count: 0
    .wavefront_size: 64
  - .agpr_count:     0
    .args:
      - .address_space:  global
        .offset:         0
        .size:           8
        .value_kind:     global_buffer
      - .address_space:  global
        .offset:         8
        .size:           8
        .value_kind:     global_buffer
      - .offset:         16
        .size:           1
        .value_kind:     by_value
    .group_segment_fixed_size: 1024
    .kernarg_segment_align: 8
    .kernarg_segment_size: 20
    .language:       OpenCL C
    .language_version:
      - 2
      - 0
    .max_flat_workgroup_size: 256
    .name:           _Z16operation_kernelIiLj256ELj1EL23memory_operation_method3E9operationIL16kernel_operation4EiLj1ELj256EEEvPT_S5_T3_
    .private_segment_fixed_size: 0
    .sgpr_count:     11
    .sgpr_spill_count: 0
    .symbol:         _Z16operation_kernelIiLj256ELj1EL23memory_operation_method3E9operationIL16kernel_operation4EiLj1ELj256EEEvPT_S5_T3_.kd
    .uniform_work_group_size: 1
    .uses_dynamic_stack: false
    .vgpr_count:     3
    .vgpr_spill_count: 0
    .wavefront_size: 64
  - .agpr_count:     0
    .args:
      - .address_space:  global
        .offset:         0
        .size:           8
        .value_kind:     global_buffer
      - .address_space:  global
        .offset:         8
        .size:           8
        .value_kind:     global_buffer
      - .offset:         16
        .size:           1
        .value_kind:     by_value
    .group_segment_fixed_size: 2112
    .kernarg_segment_align: 8
    .kernarg_segment_size: 20
    .language:       OpenCL C
    .language_version:
      - 2
      - 0
    .max_flat_workgroup_size: 256
    .name:           _Z16operation_kernelIiLj256ELj2EL23memory_operation_method3E9operationIL16kernel_operation4EiLj2ELj256EEEvPT_S5_T3_
    .private_segment_fixed_size: 0
    .sgpr_count:     11
    .sgpr_spill_count: 0
    .symbol:         _Z16operation_kernelIiLj256ELj2EL23memory_operation_method3E9operationIL16kernel_operation4EiLj2ELj256EEEvPT_S5_T3_.kd
    .uniform_work_group_size: 1
    .uses_dynamic_stack: false
    .vgpr_count:     8
    .vgpr_spill_count: 0
    .wavefront_size: 64
  - .agpr_count:     0
    .args:
      - .address_space:  global
        .offset:         0
        .size:           8
        .value_kind:     global_buffer
      - .address_space:  global
        .offset:         8
        .size:           8
        .value_kind:     global_buffer
      - .offset:         16
        .size:           1
        .value_kind:     by_value
    .group_segment_fixed_size: 4224
    .kernarg_segment_align: 8
    .kernarg_segment_size: 20
    .language:       OpenCL C
    .language_version:
      - 2
      - 0
    .max_flat_workgroup_size: 256
    .name:           _Z16operation_kernelIiLj256ELj4EL23memory_operation_method3E9operationIL16kernel_operation4EiLj4ELj256EEEvPT_S5_T3_
    .private_segment_fixed_size: 0
    .sgpr_count:     11
    .sgpr_spill_count: 0
    .symbol:         _Z16operation_kernelIiLj256ELj4EL23memory_operation_method3E9operationIL16kernel_operation4EiLj4ELj256EEEvPT_S5_T3_.kd
    .uniform_work_group_size: 1
    .uses_dynamic_stack: false
    .vgpr_count:     13
    .vgpr_spill_count: 0
    .wavefront_size: 64
  - .agpr_count:     0
    .args:
      - .address_space:  global
        .offset:         0
        .size:           8
        .value_kind:     global_buffer
      - .address_space:  global
        .offset:         8
        .size:           8
        .value_kind:     global_buffer
      - .offset:         16
        .size:           1
        .value_kind:     by_value
    .group_segment_fixed_size: 8448
    .kernarg_segment_align: 8
    .kernarg_segment_size: 20
    .language:       OpenCL C
    .language_version:
      - 2
      - 0
    .max_flat_workgroup_size: 256
    .name:           _Z16operation_kernelIiLj256ELj8EL23memory_operation_method3E9operationIL16kernel_operation4EiLj8ELj256EEEvPT_S5_T3_
    .private_segment_fixed_size: 0
    .sgpr_count:     11
    .sgpr_spill_count: 0
    .symbol:         _Z16operation_kernelIiLj256ELj8EL23memory_operation_method3E9operationIL16kernel_operation4EiLj8ELj256EEEvPT_S5_T3_.kd
    .uniform_work_group_size: 1
    .uses_dynamic_stack: false
    .vgpr_count:     23
    .vgpr_spill_count: 0
    .wavefront_size: 64
  - .agpr_count:     0
    .args:
      - .address_space:  global
        .offset:         0
        .size:           8
        .value_kind:     global_buffer
      - .address_space:  global
        .offset:         8
        .size:           8
        .value_kind:     global_buffer
      - .offset:         16
        .size:           1
        .value_kind:     by_value
    .group_segment_fixed_size: 1024
    .kernarg_segment_align: 8
    .kernarg_segment_size: 20
    .language:       OpenCL C
    .language_version:
      - 2
      - 0
    .max_flat_workgroup_size: 256
    .name:           _Z16operation_kernelIiLj256ELj1EL23memory_operation_method4E9operationIL16kernel_operation4EiLj1ELj256EEEvPT_S5_T3_
    .private_segment_fixed_size: 0
    .sgpr_count:     11
    .sgpr_spill_count: 0
    .symbol:         _Z16operation_kernelIiLj256ELj1EL23memory_operation_method4E9operationIL16kernel_operation4EiLj1ELj256EEEvPT_S5_T3_.kd
    .uniform_work_group_size: 1
    .uses_dynamic_stack: false
    .vgpr_count:     8
    .vgpr_spill_count: 0
    .wavefront_size: 64
  - .agpr_count:     0
    .args:
      - .address_space:  global
        .offset:         0
        .size:           8
        .value_kind:     global_buffer
      - .address_space:  global
        .offset:         8
        .size:           8
        .value_kind:     global_buffer
      - .offset:         16
        .size:           1
        .value_kind:     by_value
    .group_segment_fixed_size: 2112
    .kernarg_segment_align: 8
    .kernarg_segment_size: 20
    .language:       OpenCL C
    .language_version:
      - 2
      - 0
    .max_flat_workgroup_size: 256
    .name:           _Z16operation_kernelIiLj256ELj2EL23memory_operation_method4E9operationIL16kernel_operation4EiLj2ELj256EEEvPT_S5_T3_
    .private_segment_fixed_size: 0
    .sgpr_count:     11
    .sgpr_spill_count: 0
    .symbol:         _Z16operation_kernelIiLj256ELj2EL23memory_operation_method4E9operationIL16kernel_operation4EiLj2ELj256EEEvPT_S5_T3_.kd
    .uniform_work_group_size: 1
    .uses_dynamic_stack: false
    .vgpr_count:     11
    .vgpr_spill_count: 0
    .wavefront_size: 64
  - .agpr_count:     0
    .args:
      - .address_space:  global
        .offset:         0
        .size:           8
        .value_kind:     global_buffer
      - .address_space:  global
        .offset:         8
        .size:           8
        .value_kind:     global_buffer
      - .offset:         16
        .size:           1
        .value_kind:     by_value
    .group_segment_fixed_size: 4224
    .kernarg_segment_align: 8
    .kernarg_segment_size: 20
    .language:       OpenCL C
    .language_version:
      - 2
      - 0
    .max_flat_workgroup_size: 256
    .name:           _Z16operation_kernelIiLj256ELj4EL23memory_operation_method4E9operationIL16kernel_operation4EiLj4ELj256EEEvPT_S5_T3_
    .private_segment_fixed_size: 0
    .sgpr_count:     11
    .sgpr_spill_count: 0
    .symbol:         _Z16operation_kernelIiLj256ELj4EL23memory_operation_method4E9operationIL16kernel_operation4EiLj4ELj256EEEvPT_S5_T3_.kd
    .uniform_work_group_size: 1
    .uses_dynamic_stack: false
    .vgpr_count:     17
    .vgpr_spill_count: 0
    .wavefront_size: 64
  - .agpr_count:     0
    .args:
      - .address_space:  global
        .offset:         0
        .size:           8
        .value_kind:     global_buffer
      - .address_space:  global
        .offset:         8
        .size:           8
        .value_kind:     global_buffer
      - .offset:         16
        .size:           1
        .value_kind:     by_value
    .group_segment_fixed_size: 8448
    .kernarg_segment_align: 8
    .kernarg_segment_size: 20
    .language:       OpenCL C
    .language_version:
      - 2
      - 0
    .max_flat_workgroup_size: 256
    .name:           _Z16operation_kernelIiLj256ELj8EL23memory_operation_method4E9operationIL16kernel_operation4EiLj8ELj256EEEvPT_S5_T3_
    .private_segment_fixed_size: 0
    .sgpr_count:     11
    .sgpr_spill_count: 0
    .symbol:         _Z16operation_kernelIiLj256ELj8EL23memory_operation_method4E9operationIL16kernel_operation4EiLj8ELj256EEEvPT_S5_T3_.kd
    .uniform_work_group_size: 1
    .uses_dynamic_stack: false
    .vgpr_count:     29
    .vgpr_spill_count: 0
    .wavefront_size: 64
  - .agpr_count:     0
    .args:
      - .address_space:  global
        .offset:         0
        .size:           8
        .value_kind:     global_buffer
      - .address_space:  global
        .offset:         8
        .size:           8
        .value_kind:     global_buffer
      - .offset:         16
        .size:           1
        .value_kind:     by_value
      - .offset:         24
        .size:           4
        .value_kind:     hidden_block_count_x
      - .offset:         28
        .size:           4
        .value_kind:     hidden_block_count_y
      - .offset:         32
        .size:           4
        .value_kind:     hidden_block_count_z
      - .offset:         36
        .size:           2
        .value_kind:     hidden_group_size_x
      - .offset:         38
        .size:           2
        .value_kind:     hidden_group_size_y
      - .offset:         40
        .size:           2
        .value_kind:     hidden_group_size_z
      - .offset:         42
        .size:           2
        .value_kind:     hidden_remainder_x
      - .offset:         44
        .size:           2
        .value_kind:     hidden_remainder_y
      - .offset:         46
        .size:           2
        .value_kind:     hidden_remainder_z
      - .offset:         64
        .size:           8
        .value_kind:     hidden_global_offset_x
      - .offset:         72
        .size:           8
        .value_kind:     hidden_global_offset_y
      - .offset:         80
        .size:           8
        .value_kind:     hidden_global_offset_z
      - .offset:         88
        .size:           2
        .value_kind:     hidden_grid_dims
    .group_segment_fixed_size: 0
    .kernarg_segment_align: 8
    .kernarg_segment_size: 280
    .language:       OpenCL C
    .language_version:
      - 2
      - 0
    .max_flat_workgroup_size: 256
    .name:           _Z16operation_kernelIiLj256ELj1EL23memory_operation_method0E9operationIL16kernel_operation5EiLj1ELj256EEEvPT_S5_T3_
    .private_segment_fixed_size: 0
    .sgpr_count:     12
    .sgpr_spill_count: 0
    .symbol:         _Z16operation_kernelIiLj256ELj1EL23memory_operation_method0E9operationIL16kernel_operation5EiLj1ELj256EEEvPT_S5_T3_.kd
    .uniform_work_group_size: 1
    .uses_dynamic_stack: false
    .vgpr_count:     5
    .vgpr_spill_count: 0
    .wavefront_size: 64
  - .agpr_count:     0
    .args:
      - .address_space:  global
        .offset:         0
        .size:           8
        .value_kind:     global_buffer
      - .address_space:  global
        .offset:         8
        .size:           8
        .value_kind:     global_buffer
      - .offset:         16
        .size:           1
        .value_kind:     by_value
      - .offset:         24
        .size:           4
        .value_kind:     hidden_block_count_x
      - .offset:         28
        .size:           4
        .value_kind:     hidden_block_count_y
      - .offset:         32
        .size:           4
        .value_kind:     hidden_block_count_z
      - .offset:         36
        .size:           2
        .value_kind:     hidden_group_size_x
      - .offset:         38
        .size:           2
        .value_kind:     hidden_group_size_y
      - .offset:         40
        .size:           2
        .value_kind:     hidden_group_size_z
      - .offset:         42
        .size:           2
        .value_kind:     hidden_remainder_x
      - .offset:         44
        .size:           2
        .value_kind:     hidden_remainder_y
      - .offset:         46
        .size:           2
        .value_kind:     hidden_remainder_z
      - .offset:         64
        .size:           8
        .value_kind:     hidden_global_offset_x
      - .offset:         72
        .size:           8
        .value_kind:     hidden_global_offset_y
      - .offset:         80
        .size:           8
        .value_kind:     hidden_global_offset_z
      - .offset:         88
        .size:           2
        .value_kind:     hidden_grid_dims
    .group_segment_fixed_size: 0
    .kernarg_segment_align: 8
    .kernarg_segment_size: 280
    .language:       OpenCL C
    .language_version:
      - 2
      - 0
    .max_flat_workgroup_size: 256
    .name:           _Z16operation_kernelIiLj256ELj2EL23memory_operation_method0E9operationIL16kernel_operation5EiLj2ELj256EEEvPT_S5_T3_
    .private_segment_fixed_size: 0
    .sgpr_count:     12
    .sgpr_spill_count: 0
    .symbol:         _Z16operation_kernelIiLj256ELj2EL23memory_operation_method0E9operationIL16kernel_operation5EiLj2ELj256EEEvPT_S5_T3_.kd
    .uniform_work_group_size: 1
    .uses_dynamic_stack: false
    .vgpr_count:     6
    .vgpr_spill_count: 0
    .wavefront_size: 64
  - .agpr_count:     0
    .args:
      - .address_space:  global
        .offset:         0
        .size:           8
        .value_kind:     global_buffer
      - .address_space:  global
        .offset:         8
        .size:           8
        .value_kind:     global_buffer
      - .offset:         16
        .size:           1
        .value_kind:     by_value
      - .offset:         24
        .size:           4
        .value_kind:     hidden_block_count_x
      - .offset:         28
        .size:           4
        .value_kind:     hidden_block_count_y
      - .offset:         32
        .size:           4
        .value_kind:     hidden_block_count_z
      - .offset:         36
        .size:           2
        .value_kind:     hidden_group_size_x
      - .offset:         38
        .size:           2
        .value_kind:     hidden_group_size_y
      - .offset:         40
        .size:           2
        .value_kind:     hidden_group_size_z
      - .offset:         42
        .size:           2
        .value_kind:     hidden_remainder_x
      - .offset:         44
        .size:           2
        .value_kind:     hidden_remainder_y
      - .offset:         46
        .size:           2
        .value_kind:     hidden_remainder_z
      - .offset:         64
        .size:           8
        .value_kind:     hidden_global_offset_x
      - .offset:         72
        .size:           8
        .value_kind:     hidden_global_offset_y
      - .offset:         80
        .size:           8
        .value_kind:     hidden_global_offset_z
      - .offset:         88
        .size:           2
        .value_kind:     hidden_grid_dims
    .group_segment_fixed_size: 0
    .kernarg_segment_align: 8
    .kernarg_segment_size: 280
    .language:       OpenCL C
    .language_version:
      - 2
      - 0
    .max_flat_workgroup_size: 256
    .name:           _Z16operation_kernelIiLj256ELj4EL23memory_operation_method0E9operationIL16kernel_operation5EiLj4ELj256EEEvPT_S5_T3_
    .private_segment_fixed_size: 0
    .sgpr_count:     12
    .sgpr_spill_count: 0
    .symbol:         _Z16operation_kernelIiLj256ELj4EL23memory_operation_method0E9operationIL16kernel_operation5EiLj4ELj256EEEvPT_S5_T3_.kd
    .uniform_work_group_size: 1
    .uses_dynamic_stack: false
    .vgpr_count:     8
    .vgpr_spill_count: 0
    .wavefront_size: 64
  - .agpr_count:     0
    .args:
      - .address_space:  global
        .offset:         0
        .size:           8
        .value_kind:     global_buffer
      - .address_space:  global
        .offset:         8
        .size:           8
        .value_kind:     global_buffer
      - .offset:         16
        .size:           1
        .value_kind:     by_value
      - .offset:         24
        .size:           4
        .value_kind:     hidden_block_count_x
      - .offset:         28
        .size:           4
        .value_kind:     hidden_block_count_y
      - .offset:         32
        .size:           4
        .value_kind:     hidden_block_count_z
      - .offset:         36
        .size:           2
        .value_kind:     hidden_group_size_x
      - .offset:         38
        .size:           2
        .value_kind:     hidden_group_size_y
      - .offset:         40
        .size:           2
        .value_kind:     hidden_group_size_z
      - .offset:         42
        .size:           2
        .value_kind:     hidden_remainder_x
      - .offset:         44
        .size:           2
        .value_kind:     hidden_remainder_y
      - .offset:         46
        .size:           2
        .value_kind:     hidden_remainder_z
      - .offset:         64
        .size:           8
        .value_kind:     hidden_global_offset_x
      - .offset:         72
        .size:           8
        .value_kind:     hidden_global_offset_y
      - .offset:         80
        .size:           8
        .value_kind:     hidden_global_offset_z
      - .offset:         88
        .size:           2
        .value_kind:     hidden_grid_dims
    .group_segment_fixed_size: 0
    .kernarg_segment_align: 8
    .kernarg_segment_size: 280
    .language:       OpenCL C
    .language_version:
      - 2
      - 0
    .max_flat_workgroup_size: 256
    .name:           _Z16operation_kernelIiLj256ELj8EL23memory_operation_method0E9operationIL16kernel_operation5EiLj8ELj256EEEvPT_S5_T3_
    .private_segment_fixed_size: 0
    .sgpr_count:     12
    .sgpr_spill_count: 0
    .symbol:         _Z16operation_kernelIiLj256ELj8EL23memory_operation_method0E9operationIL16kernel_operation5EiLj8ELj256EEEvPT_S5_T3_.kd
    .uniform_work_group_size: 1
    .uses_dynamic_stack: false
    .vgpr_count:     12
    .vgpr_spill_count: 0
    .wavefront_size: 64
  - .agpr_count:     0
    .args:
      - .address_space:  global
        .offset:         0
        .size:           8
        .value_kind:     global_buffer
      - .address_space:  global
        .offset:         8
        .size:           8
        .value_kind:     global_buffer
      - .offset:         16
        .size:           1
        .value_kind:     by_value
      - .offset:         24
        .size:           4
        .value_kind:     hidden_block_count_x
      - .offset:         28
        .size:           4
        .value_kind:     hidden_block_count_y
      - .offset:         32
        .size:           4
        .value_kind:     hidden_block_count_z
      - .offset:         36
        .size:           2
        .value_kind:     hidden_group_size_x
      - .offset:         38
        .size:           2
        .value_kind:     hidden_group_size_y
      - .offset:         40
        .size:           2
        .value_kind:     hidden_group_size_z
      - .offset:         42
        .size:           2
        .value_kind:     hidden_remainder_x
      - .offset:         44
        .size:           2
        .value_kind:     hidden_remainder_y
      - .offset:         46
        .size:           2
        .value_kind:     hidden_remainder_z
      - .offset:         64
        .size:           8
        .value_kind:     hidden_global_offset_x
      - .offset:         72
        .size:           8
        .value_kind:     hidden_global_offset_y
      - .offset:         80
        .size:           8
        .value_kind:     hidden_global_offset_z
      - .offset:         88
        .size:           2
        .value_kind:     hidden_grid_dims
    .group_segment_fixed_size: 0
    .kernarg_segment_align: 8
    .kernarg_segment_size: 280
    .language:       OpenCL C
    .language_version:
      - 2
      - 0
    .max_flat_workgroup_size: 256
    .name:           _Z16operation_kernelIiLj256ELj1EL23memory_operation_method1E9operationIL16kernel_operation5EiLj1ELj256EEEvPT_S5_T3_
    .private_segment_fixed_size: 0
    .sgpr_count:     12
    .sgpr_spill_count: 0
    .symbol:         _Z16operation_kernelIiLj256ELj1EL23memory_operation_method1E9operationIL16kernel_operation5EiLj1ELj256EEEvPT_S5_T3_.kd
    .uniform_work_group_size: 1
    .uses_dynamic_stack: false
    .vgpr_count:     5
    .vgpr_spill_count: 0
    .wavefront_size: 64
  - .agpr_count:     0
    .args:
      - .address_space:  global
        .offset:         0
        .size:           8
        .value_kind:     global_buffer
      - .address_space:  global
        .offset:         8
        .size:           8
        .value_kind:     global_buffer
      - .offset:         16
        .size:           1
        .value_kind:     by_value
      - .offset:         24
        .size:           4
        .value_kind:     hidden_block_count_x
      - .offset:         28
        .size:           4
        .value_kind:     hidden_block_count_y
      - .offset:         32
        .size:           4
        .value_kind:     hidden_block_count_z
      - .offset:         36
        .size:           2
        .value_kind:     hidden_group_size_x
      - .offset:         38
        .size:           2
        .value_kind:     hidden_group_size_y
      - .offset:         40
        .size:           2
        .value_kind:     hidden_group_size_z
      - .offset:         42
        .size:           2
        .value_kind:     hidden_remainder_x
      - .offset:         44
        .size:           2
        .value_kind:     hidden_remainder_y
      - .offset:         46
        .size:           2
        .value_kind:     hidden_remainder_z
      - .offset:         64
        .size:           8
        .value_kind:     hidden_global_offset_x
      - .offset:         72
        .size:           8
        .value_kind:     hidden_global_offset_y
      - .offset:         80
        .size:           8
        .value_kind:     hidden_global_offset_z
      - .offset:         88
        .size:           2
        .value_kind:     hidden_grid_dims
    .group_segment_fixed_size: 0
    .kernarg_segment_align: 8
    .kernarg_segment_size: 280
    .language:       OpenCL C
    .language_version:
      - 2
      - 0
    .max_flat_workgroup_size: 256
    .name:           _Z16operation_kernelIiLj256ELj2EL23memory_operation_method1E9operationIL16kernel_operation5EiLj2ELj256EEEvPT_S5_T3_
    .private_segment_fixed_size: 0
    .sgpr_count:     12
    .sgpr_spill_count: 0
    .symbol:         _Z16operation_kernelIiLj256ELj2EL23memory_operation_method1E9operationIL16kernel_operation5EiLj2ELj256EEEvPT_S5_T3_.kd
    .uniform_work_group_size: 1
    .uses_dynamic_stack: false
    .vgpr_count:     6
    .vgpr_spill_count: 0
    .wavefront_size: 64
  - .agpr_count:     0
    .args:
      - .address_space:  global
        .offset:         0
        .size:           8
        .value_kind:     global_buffer
      - .address_space:  global
        .offset:         8
        .size:           8
        .value_kind:     global_buffer
      - .offset:         16
        .size:           1
        .value_kind:     by_value
      - .offset:         24
        .size:           4
        .value_kind:     hidden_block_count_x
      - .offset:         28
        .size:           4
        .value_kind:     hidden_block_count_y
      - .offset:         32
        .size:           4
        .value_kind:     hidden_block_count_z
      - .offset:         36
        .size:           2
        .value_kind:     hidden_group_size_x
      - .offset:         38
        .size:           2
        .value_kind:     hidden_group_size_y
      - .offset:         40
        .size:           2
        .value_kind:     hidden_group_size_z
      - .offset:         42
        .size:           2
        .value_kind:     hidden_remainder_x
      - .offset:         44
        .size:           2
        .value_kind:     hidden_remainder_y
      - .offset:         46
        .size:           2
        .value_kind:     hidden_remainder_z
      - .offset:         64
        .size:           8
        .value_kind:     hidden_global_offset_x
      - .offset:         72
        .size:           8
        .value_kind:     hidden_global_offset_y
      - .offset:         80
        .size:           8
        .value_kind:     hidden_global_offset_z
      - .offset:         88
        .size:           2
        .value_kind:     hidden_grid_dims
    .group_segment_fixed_size: 0
    .kernarg_segment_align: 8
    .kernarg_segment_size: 280
    .language:       OpenCL C
    .language_version:
      - 2
      - 0
    .max_flat_workgroup_size: 256
    .name:           _Z16operation_kernelIiLj256ELj4EL23memory_operation_method1E9operationIL16kernel_operation5EiLj4ELj256EEEvPT_S5_T3_
    .private_segment_fixed_size: 0
    .sgpr_count:     12
    .sgpr_spill_count: 0
    .symbol:         _Z16operation_kernelIiLj256ELj4EL23memory_operation_method1E9operationIL16kernel_operation5EiLj4ELj256EEEvPT_S5_T3_.kd
    .uniform_work_group_size: 1
    .uses_dynamic_stack: false
    .vgpr_count:     8
    .vgpr_spill_count: 0
    .wavefront_size: 64
  - .agpr_count:     0
    .args:
      - .address_space:  global
        .offset:         0
        .size:           8
        .value_kind:     global_buffer
      - .address_space:  global
        .offset:         8
        .size:           8
        .value_kind:     global_buffer
      - .offset:         16
        .size:           1
        .value_kind:     by_value
      - .offset:         24
        .size:           4
        .value_kind:     hidden_block_count_x
      - .offset:         28
        .size:           4
        .value_kind:     hidden_block_count_y
      - .offset:         32
        .size:           4
        .value_kind:     hidden_block_count_z
      - .offset:         36
        .size:           2
        .value_kind:     hidden_group_size_x
      - .offset:         38
        .size:           2
        .value_kind:     hidden_group_size_y
      - .offset:         40
        .size:           2
        .value_kind:     hidden_group_size_z
      - .offset:         42
        .size:           2
        .value_kind:     hidden_remainder_x
      - .offset:         44
        .size:           2
        .value_kind:     hidden_remainder_y
      - .offset:         46
        .size:           2
        .value_kind:     hidden_remainder_z
      - .offset:         64
        .size:           8
        .value_kind:     hidden_global_offset_x
      - .offset:         72
        .size:           8
        .value_kind:     hidden_global_offset_y
      - .offset:         80
        .size:           8
        .value_kind:     hidden_global_offset_z
      - .offset:         88
        .size:           2
        .value_kind:     hidden_grid_dims
    .group_segment_fixed_size: 0
    .kernarg_segment_align: 8
    .kernarg_segment_size: 280
    .language:       OpenCL C
    .language_version:
      - 2
      - 0
    .max_flat_workgroup_size: 256
    .name:           _Z16operation_kernelIiLj256ELj8EL23memory_operation_method1E9operationIL16kernel_operation5EiLj8ELj256EEEvPT_S5_T3_
    .private_segment_fixed_size: 0
    .sgpr_count:     13
    .sgpr_spill_count: 0
    .symbol:         _Z16operation_kernelIiLj256ELj8EL23memory_operation_method1E9operationIL16kernel_operation5EiLj8ELj256EEEvPT_S5_T3_.kd
    .uniform_work_group_size: 1
    .uses_dynamic_stack: false
    .vgpr_count:     13
    .vgpr_spill_count: 0
    .wavefront_size: 64
  - .agpr_count:     0
    .args:
      - .address_space:  global
        .offset:         0
        .size:           8
        .value_kind:     global_buffer
      - .address_space:  global
        .offset:         8
        .size:           8
        .value_kind:     global_buffer
      - .offset:         16
        .size:           1
        .value_kind:     by_value
      - .offset:         24
        .size:           4
        .value_kind:     hidden_block_count_x
      - .offset:         28
        .size:           4
        .value_kind:     hidden_block_count_y
      - .offset:         32
        .size:           4
        .value_kind:     hidden_block_count_z
      - .offset:         36
        .size:           2
        .value_kind:     hidden_group_size_x
      - .offset:         38
        .size:           2
        .value_kind:     hidden_group_size_y
      - .offset:         40
        .size:           2
        .value_kind:     hidden_group_size_z
      - .offset:         42
        .size:           2
        .value_kind:     hidden_remainder_x
      - .offset:         44
        .size:           2
        .value_kind:     hidden_remainder_y
      - .offset:         46
        .size:           2
        .value_kind:     hidden_remainder_z
      - .offset:         64
        .size:           8
        .value_kind:     hidden_global_offset_x
      - .offset:         72
        .size:           8
        .value_kind:     hidden_global_offset_y
      - .offset:         80
        .size:           8
        .value_kind:     hidden_global_offset_z
      - .offset:         88
        .size:           2
        .value_kind:     hidden_grid_dims
    .group_segment_fixed_size: 0
    .kernarg_segment_align: 8
    .kernarg_segment_size: 280
    .language:       OpenCL C
    .language_version:
      - 2
      - 0
    .max_flat_workgroup_size: 256
    .name:           _Z16operation_kernelIiLj256ELj1EL23memory_operation_method2E9operationIL16kernel_operation5EiLj1ELj256EEEvPT_S5_T3_
    .private_segment_fixed_size: 0
    .sgpr_count:     12
    .sgpr_spill_count: 0
    .symbol:         _Z16operation_kernelIiLj256ELj1EL23memory_operation_method2E9operationIL16kernel_operation5EiLj1ELj256EEEvPT_S5_T3_.kd
    .uniform_work_group_size: 1
    .uses_dynamic_stack: false
    .vgpr_count:     5
    .vgpr_spill_count: 0
    .wavefront_size: 64
  - .agpr_count:     0
    .args:
      - .address_space:  global
        .offset:         0
        .size:           8
        .value_kind:     global_buffer
      - .address_space:  global
        .offset:         8
        .size:           8
        .value_kind:     global_buffer
      - .offset:         16
        .size:           1
        .value_kind:     by_value
      - .offset:         24
        .size:           4
        .value_kind:     hidden_block_count_x
      - .offset:         28
        .size:           4
        .value_kind:     hidden_block_count_y
      - .offset:         32
        .size:           4
        .value_kind:     hidden_block_count_z
      - .offset:         36
        .size:           2
        .value_kind:     hidden_group_size_x
      - .offset:         38
        .size:           2
        .value_kind:     hidden_group_size_y
      - .offset:         40
        .size:           2
        .value_kind:     hidden_group_size_z
      - .offset:         42
        .size:           2
        .value_kind:     hidden_remainder_x
      - .offset:         44
        .size:           2
        .value_kind:     hidden_remainder_y
      - .offset:         46
        .size:           2
        .value_kind:     hidden_remainder_z
      - .offset:         64
        .size:           8
        .value_kind:     hidden_global_offset_x
      - .offset:         72
        .size:           8
        .value_kind:     hidden_global_offset_y
      - .offset:         80
        .size:           8
        .value_kind:     hidden_global_offset_z
      - .offset:         88
        .size:           2
        .value_kind:     hidden_grid_dims
    .group_segment_fixed_size: 0
    .kernarg_segment_align: 8
    .kernarg_segment_size: 280
    .language:       OpenCL C
    .language_version:
      - 2
      - 0
    .max_flat_workgroup_size: 256
    .name:           _Z16operation_kernelIiLj256ELj2EL23memory_operation_method2E9operationIL16kernel_operation5EiLj2ELj256EEEvPT_S5_T3_
    .private_segment_fixed_size: 0
    .sgpr_count:     12
    .sgpr_spill_count: 0
    .symbol:         _Z16operation_kernelIiLj256ELj2EL23memory_operation_method2E9operationIL16kernel_operation5EiLj2ELj256EEEvPT_S5_T3_.kd
    .uniform_work_group_size: 1
    .uses_dynamic_stack: false
    .vgpr_count:     6
    .vgpr_spill_count: 0
    .wavefront_size: 64
  - .agpr_count:     0
    .args:
      - .address_space:  global
        .offset:         0
        .size:           8
        .value_kind:     global_buffer
      - .address_space:  global
        .offset:         8
        .size:           8
        .value_kind:     global_buffer
      - .offset:         16
        .size:           1
        .value_kind:     by_value
      - .offset:         24
        .size:           4
        .value_kind:     hidden_block_count_x
      - .offset:         28
        .size:           4
        .value_kind:     hidden_block_count_y
      - .offset:         32
        .size:           4
        .value_kind:     hidden_block_count_z
      - .offset:         36
        .size:           2
        .value_kind:     hidden_group_size_x
      - .offset:         38
        .size:           2
        .value_kind:     hidden_group_size_y
      - .offset:         40
        .size:           2
        .value_kind:     hidden_group_size_z
      - .offset:         42
        .size:           2
        .value_kind:     hidden_remainder_x
      - .offset:         44
        .size:           2
        .value_kind:     hidden_remainder_y
      - .offset:         46
        .size:           2
        .value_kind:     hidden_remainder_z
      - .offset:         64
        .size:           8
        .value_kind:     hidden_global_offset_x
      - .offset:         72
        .size:           8
        .value_kind:     hidden_global_offset_y
      - .offset:         80
        .size:           8
        .value_kind:     hidden_global_offset_z
      - .offset:         88
        .size:           2
        .value_kind:     hidden_grid_dims
    .group_segment_fixed_size: 0
    .kernarg_segment_align: 8
    .kernarg_segment_size: 280
    .language:       OpenCL C
    .language_version:
      - 2
      - 0
    .max_flat_workgroup_size: 256
    .name:           _Z16operation_kernelIiLj256ELj4EL23memory_operation_method2E9operationIL16kernel_operation5EiLj4ELj256EEEvPT_S5_T3_
    .private_segment_fixed_size: 0
    .sgpr_count:     12
    .sgpr_spill_count: 0
    .symbol:         _Z16operation_kernelIiLj256ELj4EL23memory_operation_method2E9operationIL16kernel_operation5EiLj4ELj256EEEvPT_S5_T3_.kd
    .uniform_work_group_size: 1
    .uses_dynamic_stack: false
    .vgpr_count:     8
    .vgpr_spill_count: 0
    .wavefront_size: 64
  - .agpr_count:     0
    .args:
      - .address_space:  global
        .offset:         0
        .size:           8
        .value_kind:     global_buffer
      - .address_space:  global
        .offset:         8
        .size:           8
        .value_kind:     global_buffer
      - .offset:         16
        .size:           1
        .value_kind:     by_value
      - .offset:         24
        .size:           4
        .value_kind:     hidden_block_count_x
      - .offset:         28
        .size:           4
        .value_kind:     hidden_block_count_y
      - .offset:         32
        .size:           4
        .value_kind:     hidden_block_count_z
      - .offset:         36
        .size:           2
        .value_kind:     hidden_group_size_x
      - .offset:         38
        .size:           2
        .value_kind:     hidden_group_size_y
      - .offset:         40
        .size:           2
        .value_kind:     hidden_group_size_z
      - .offset:         42
        .size:           2
        .value_kind:     hidden_remainder_x
      - .offset:         44
        .size:           2
        .value_kind:     hidden_remainder_y
      - .offset:         46
        .size:           2
        .value_kind:     hidden_remainder_z
      - .offset:         64
        .size:           8
        .value_kind:     hidden_global_offset_x
      - .offset:         72
        .size:           8
        .value_kind:     hidden_global_offset_y
      - .offset:         80
        .size:           8
        .value_kind:     hidden_global_offset_z
      - .offset:         88
        .size:           2
        .value_kind:     hidden_grid_dims
    .group_segment_fixed_size: 0
    .kernarg_segment_align: 8
    .kernarg_segment_size: 280
    .language:       OpenCL C
    .language_version:
      - 2
      - 0
    .max_flat_workgroup_size: 256
    .name:           _Z16operation_kernelIiLj256ELj8EL23memory_operation_method2E9operationIL16kernel_operation5EiLj8ELj256EEEvPT_S5_T3_
    .private_segment_fixed_size: 0
    .sgpr_count:     12
    .sgpr_spill_count: 0
    .symbol:         _Z16operation_kernelIiLj256ELj8EL23memory_operation_method2E9operationIL16kernel_operation5EiLj8ELj256EEEvPT_S5_T3_.kd
    .uniform_work_group_size: 1
    .uses_dynamic_stack: false
    .vgpr_count:     12
    .vgpr_spill_count: 0
    .wavefront_size: 64
  - .agpr_count:     0
    .args:
      - .address_space:  global
        .offset:         0
        .size:           8
        .value_kind:     global_buffer
      - .address_space:  global
        .offset:         8
        .size:           8
        .value_kind:     global_buffer
      - .offset:         16
        .size:           1
        .value_kind:     by_value
      - .offset:         24
        .size:           4
        .value_kind:     hidden_block_count_x
      - .offset:         28
        .size:           4
        .value_kind:     hidden_block_count_y
      - .offset:         32
        .size:           4
        .value_kind:     hidden_block_count_z
      - .offset:         36
        .size:           2
        .value_kind:     hidden_group_size_x
      - .offset:         38
        .size:           2
        .value_kind:     hidden_group_size_y
      - .offset:         40
        .size:           2
        .value_kind:     hidden_group_size_z
      - .offset:         42
        .size:           2
        .value_kind:     hidden_remainder_x
      - .offset:         44
        .size:           2
        .value_kind:     hidden_remainder_y
      - .offset:         46
        .size:           2
        .value_kind:     hidden_remainder_z
      - .offset:         64
        .size:           8
        .value_kind:     hidden_global_offset_x
      - .offset:         72
        .size:           8
        .value_kind:     hidden_global_offset_y
      - .offset:         80
        .size:           8
        .value_kind:     hidden_global_offset_z
      - .offset:         88
        .size:           2
        .value_kind:     hidden_grid_dims
    .group_segment_fixed_size: 1024
    .kernarg_segment_align: 8
    .kernarg_segment_size: 280
    .language:       OpenCL C
    .language_version:
      - 2
      - 0
    .max_flat_workgroup_size: 256
    .name:           _Z16operation_kernelIiLj256ELj1EL23memory_operation_method3E9operationIL16kernel_operation5EiLj1ELj256EEEvPT_S5_T3_
    .private_segment_fixed_size: 0
    .sgpr_count:     12
    .sgpr_spill_count: 0
    .symbol:         _Z16operation_kernelIiLj256ELj1EL23memory_operation_method3E9operationIL16kernel_operation5EiLj1ELj256EEEvPT_S5_T3_.kd
    .uniform_work_group_size: 1
    .uses_dynamic_stack: false
    .vgpr_count:     6
    .vgpr_spill_count: 0
    .wavefront_size: 64
  - .agpr_count:     0
    .args:
      - .address_space:  global
        .offset:         0
        .size:           8
        .value_kind:     global_buffer
      - .address_space:  global
        .offset:         8
        .size:           8
        .value_kind:     global_buffer
      - .offset:         16
        .size:           1
        .value_kind:     by_value
      - .offset:         24
        .size:           4
        .value_kind:     hidden_block_count_x
      - .offset:         28
        .size:           4
        .value_kind:     hidden_block_count_y
      - .offset:         32
        .size:           4
        .value_kind:     hidden_block_count_z
      - .offset:         36
        .size:           2
        .value_kind:     hidden_group_size_x
      - .offset:         38
        .size:           2
        .value_kind:     hidden_group_size_y
      - .offset:         40
        .size:           2
        .value_kind:     hidden_group_size_z
      - .offset:         42
        .size:           2
        .value_kind:     hidden_remainder_x
      - .offset:         44
        .size:           2
        .value_kind:     hidden_remainder_y
      - .offset:         46
        .size:           2
        .value_kind:     hidden_remainder_z
      - .offset:         64
        .size:           8
        .value_kind:     hidden_global_offset_x
      - .offset:         72
        .size:           8
        .value_kind:     hidden_global_offset_y
      - .offset:         80
        .size:           8
        .value_kind:     hidden_global_offset_z
      - .offset:         88
        .size:           2
        .value_kind:     hidden_grid_dims
    .group_segment_fixed_size: 2112
    .kernarg_segment_align: 8
    .kernarg_segment_size: 280
    .language:       OpenCL C
    .language_version:
      - 2
      - 0
    .max_flat_workgroup_size: 256
    .name:           _Z16operation_kernelIiLj256ELj2EL23memory_operation_method3E9operationIL16kernel_operation5EiLj2ELj256EEEvPT_S5_T3_
    .private_segment_fixed_size: 0
    .sgpr_count:     12
    .sgpr_spill_count: 0
    .symbol:         _Z16operation_kernelIiLj256ELj2EL23memory_operation_method3E9operationIL16kernel_operation5EiLj2ELj256EEEvPT_S5_T3_.kd
    .uniform_work_group_size: 1
    .uses_dynamic_stack: false
    .vgpr_count:     11
    .vgpr_spill_count: 0
    .wavefront_size: 64
  - .agpr_count:     0
    .args:
      - .address_space:  global
        .offset:         0
        .size:           8
        .value_kind:     global_buffer
      - .address_space:  global
        .offset:         8
        .size:           8
        .value_kind:     global_buffer
      - .offset:         16
        .size:           1
        .value_kind:     by_value
      - .offset:         24
        .size:           4
        .value_kind:     hidden_block_count_x
      - .offset:         28
        .size:           4
        .value_kind:     hidden_block_count_y
      - .offset:         32
        .size:           4
        .value_kind:     hidden_block_count_z
      - .offset:         36
        .size:           2
        .value_kind:     hidden_group_size_x
      - .offset:         38
        .size:           2
        .value_kind:     hidden_group_size_y
      - .offset:         40
        .size:           2
        .value_kind:     hidden_group_size_z
      - .offset:         42
        .size:           2
        .value_kind:     hidden_remainder_x
      - .offset:         44
        .size:           2
        .value_kind:     hidden_remainder_y
      - .offset:         46
        .size:           2
        .value_kind:     hidden_remainder_z
      - .offset:         64
        .size:           8
        .value_kind:     hidden_global_offset_x
      - .offset:         72
        .size:           8
        .value_kind:     hidden_global_offset_y
      - .offset:         80
        .size:           8
        .value_kind:     hidden_global_offset_z
      - .offset:         88
        .size:           2
        .value_kind:     hidden_grid_dims
    .group_segment_fixed_size: 4224
    .kernarg_segment_align: 8
    .kernarg_segment_size: 280
    .language:       OpenCL C
    .language_version:
      - 2
      - 0
    .max_flat_workgroup_size: 256
    .name:           _Z16operation_kernelIiLj256ELj4EL23memory_operation_method3E9operationIL16kernel_operation5EiLj4ELj256EEEvPT_S5_T3_
    .private_segment_fixed_size: 0
    .sgpr_count:     12
    .sgpr_spill_count: 0
    .symbol:         _Z16operation_kernelIiLj256ELj4EL23memory_operation_method3E9operationIL16kernel_operation5EiLj4ELj256EEEvPT_S5_T3_.kd
    .uniform_work_group_size: 1
    .uses_dynamic_stack: false
    .vgpr_count:     15
    .vgpr_spill_count: 0
    .wavefront_size: 64
  - .agpr_count:     0
    .args:
      - .address_space:  global
        .offset:         0
        .size:           8
        .value_kind:     global_buffer
      - .address_space:  global
        .offset:         8
        .size:           8
        .value_kind:     global_buffer
      - .offset:         16
        .size:           1
        .value_kind:     by_value
      - .offset:         24
        .size:           4
        .value_kind:     hidden_block_count_x
      - .offset:         28
        .size:           4
        .value_kind:     hidden_block_count_y
      - .offset:         32
        .size:           4
        .value_kind:     hidden_block_count_z
      - .offset:         36
        .size:           2
        .value_kind:     hidden_group_size_x
      - .offset:         38
        .size:           2
        .value_kind:     hidden_group_size_y
      - .offset:         40
        .size:           2
        .value_kind:     hidden_group_size_z
      - .offset:         42
        .size:           2
        .value_kind:     hidden_remainder_x
      - .offset:         44
        .size:           2
        .value_kind:     hidden_remainder_y
      - .offset:         46
        .size:           2
        .value_kind:     hidden_remainder_z
      - .offset:         64
        .size:           8
        .value_kind:     hidden_global_offset_x
      - .offset:         72
        .size:           8
        .value_kind:     hidden_global_offset_y
      - .offset:         80
        .size:           8
        .value_kind:     hidden_global_offset_z
      - .offset:         88
        .size:           2
        .value_kind:     hidden_grid_dims
    .group_segment_fixed_size: 8448
    .kernarg_segment_align: 8
    .kernarg_segment_size: 280
    .language:       OpenCL C
    .language_version:
      - 2
      - 0
    .max_flat_workgroup_size: 256
    .name:           _Z16operation_kernelIiLj256ELj8EL23memory_operation_method3E9operationIL16kernel_operation5EiLj8ELj256EEEvPT_S5_T3_
    .private_segment_fixed_size: 0
    .sgpr_count:     13
    .sgpr_spill_count: 0
    .symbol:         _Z16operation_kernelIiLj256ELj8EL23memory_operation_method3E9operationIL16kernel_operation5EiLj8ELj256EEEvPT_S5_T3_.kd
    .uniform_work_group_size: 1
    .uses_dynamic_stack: false
    .vgpr_count:     24
    .vgpr_spill_count: 0
    .wavefront_size: 64
  - .agpr_count:     0
    .args:
      - .address_space:  global
        .offset:         0
        .size:           8
        .value_kind:     global_buffer
      - .address_space:  global
        .offset:         8
        .size:           8
        .value_kind:     global_buffer
      - .offset:         16
        .size:           1
        .value_kind:     by_value
      - .offset:         24
        .size:           4
        .value_kind:     hidden_block_count_x
      - .offset:         28
        .size:           4
        .value_kind:     hidden_block_count_y
      - .offset:         32
        .size:           4
        .value_kind:     hidden_block_count_z
      - .offset:         36
        .size:           2
        .value_kind:     hidden_group_size_x
      - .offset:         38
        .size:           2
        .value_kind:     hidden_group_size_y
      - .offset:         40
        .size:           2
        .value_kind:     hidden_group_size_z
      - .offset:         42
        .size:           2
        .value_kind:     hidden_remainder_x
      - .offset:         44
        .size:           2
        .value_kind:     hidden_remainder_y
      - .offset:         46
        .size:           2
        .value_kind:     hidden_remainder_z
      - .offset:         64
        .size:           8
        .value_kind:     hidden_global_offset_x
      - .offset:         72
        .size:           8
        .value_kind:     hidden_global_offset_y
      - .offset:         80
        .size:           8
        .value_kind:     hidden_global_offset_z
      - .offset:         88
        .size:           2
        .value_kind:     hidden_grid_dims
    .group_segment_fixed_size: 1024
    .kernarg_segment_align: 8
    .kernarg_segment_size: 280
    .language:       OpenCL C
    .language_version:
      - 2
      - 0
    .max_flat_workgroup_size: 256
    .name:           _Z16operation_kernelIiLj256ELj1EL23memory_operation_method4E9operationIL16kernel_operation5EiLj1ELj256EEEvPT_S5_T3_
    .private_segment_fixed_size: 0
    .sgpr_count:     12
    .sgpr_spill_count: 0
    .symbol:         _Z16operation_kernelIiLj256ELj1EL23memory_operation_method4E9operationIL16kernel_operation5EiLj1ELj256EEEvPT_S5_T3_.kd
    .uniform_work_group_size: 1
    .uses_dynamic_stack: false
    .vgpr_count:     8
    .vgpr_spill_count: 0
    .wavefront_size: 64
  - .agpr_count:     0
    .args:
      - .address_space:  global
        .offset:         0
        .size:           8
        .value_kind:     global_buffer
      - .address_space:  global
        .offset:         8
        .size:           8
        .value_kind:     global_buffer
      - .offset:         16
        .size:           1
        .value_kind:     by_value
      - .offset:         24
        .size:           4
        .value_kind:     hidden_block_count_x
      - .offset:         28
        .size:           4
        .value_kind:     hidden_block_count_y
      - .offset:         32
        .size:           4
        .value_kind:     hidden_block_count_z
      - .offset:         36
        .size:           2
        .value_kind:     hidden_group_size_x
      - .offset:         38
        .size:           2
        .value_kind:     hidden_group_size_y
      - .offset:         40
        .size:           2
        .value_kind:     hidden_group_size_z
      - .offset:         42
        .size:           2
        .value_kind:     hidden_remainder_x
      - .offset:         44
        .size:           2
        .value_kind:     hidden_remainder_y
      - .offset:         46
        .size:           2
        .value_kind:     hidden_remainder_z
      - .offset:         64
        .size:           8
        .value_kind:     hidden_global_offset_x
      - .offset:         72
        .size:           8
        .value_kind:     hidden_global_offset_y
      - .offset:         80
        .size:           8
        .value_kind:     hidden_global_offset_z
      - .offset:         88
        .size:           2
        .value_kind:     hidden_grid_dims
    .group_segment_fixed_size: 2112
    .kernarg_segment_align: 8
    .kernarg_segment_size: 280
    .language:       OpenCL C
    .language_version:
      - 2
      - 0
    .max_flat_workgroup_size: 256
    .name:           _Z16operation_kernelIiLj256ELj2EL23memory_operation_method4E9operationIL16kernel_operation5EiLj2ELj256EEEvPT_S5_T3_
    .private_segment_fixed_size: 0
    .sgpr_count:     12
    .sgpr_spill_count: 0
    .symbol:         _Z16operation_kernelIiLj256ELj2EL23memory_operation_method4E9operationIL16kernel_operation5EiLj2ELj256EEEvPT_S5_T3_.kd
    .uniform_work_group_size: 1
    .uses_dynamic_stack: false
    .vgpr_count:     12
    .vgpr_spill_count: 0
    .wavefront_size: 64
  - .agpr_count:     0
    .args:
      - .address_space:  global
        .offset:         0
        .size:           8
        .value_kind:     global_buffer
      - .address_space:  global
        .offset:         8
        .size:           8
        .value_kind:     global_buffer
      - .offset:         16
        .size:           1
        .value_kind:     by_value
      - .offset:         24
        .size:           4
        .value_kind:     hidden_block_count_x
      - .offset:         28
        .size:           4
        .value_kind:     hidden_block_count_y
      - .offset:         32
        .size:           4
        .value_kind:     hidden_block_count_z
      - .offset:         36
        .size:           2
        .value_kind:     hidden_group_size_x
      - .offset:         38
        .size:           2
        .value_kind:     hidden_group_size_y
      - .offset:         40
        .size:           2
        .value_kind:     hidden_group_size_z
      - .offset:         42
        .size:           2
        .value_kind:     hidden_remainder_x
      - .offset:         44
        .size:           2
        .value_kind:     hidden_remainder_y
      - .offset:         46
        .size:           2
        .value_kind:     hidden_remainder_z
      - .offset:         64
        .size:           8
        .value_kind:     hidden_global_offset_x
      - .offset:         72
        .size:           8
        .value_kind:     hidden_global_offset_y
      - .offset:         80
        .size:           8
        .value_kind:     hidden_global_offset_z
      - .offset:         88
        .size:           2
        .value_kind:     hidden_grid_dims
    .group_segment_fixed_size: 4224
    .kernarg_segment_align: 8
    .kernarg_segment_size: 280
    .language:       OpenCL C
    .language_version:
      - 2
      - 0
    .max_flat_workgroup_size: 256
    .name:           _Z16operation_kernelIiLj256ELj4EL23memory_operation_method4E9operationIL16kernel_operation5EiLj4ELj256EEEvPT_S5_T3_
    .private_segment_fixed_size: 0
    .sgpr_count:     12
    .sgpr_spill_count: 0
    .symbol:         _Z16operation_kernelIiLj256ELj4EL23memory_operation_method4E9operationIL16kernel_operation5EiLj4ELj256EEEvPT_S5_T3_.kd
    .uniform_work_group_size: 1
    .uses_dynamic_stack: false
    .vgpr_count:     18
    .vgpr_spill_count: 0
    .wavefront_size: 64
  - .agpr_count:     0
    .args:
      - .address_space:  global
        .offset:         0
        .size:           8
        .value_kind:     global_buffer
      - .address_space:  global
        .offset:         8
        .size:           8
        .value_kind:     global_buffer
      - .offset:         16
        .size:           1
        .value_kind:     by_value
      - .offset:         24
        .size:           4
        .value_kind:     hidden_block_count_x
      - .offset:         28
        .size:           4
        .value_kind:     hidden_block_count_y
      - .offset:         32
        .size:           4
        .value_kind:     hidden_block_count_z
      - .offset:         36
        .size:           2
        .value_kind:     hidden_group_size_x
      - .offset:         38
        .size:           2
        .value_kind:     hidden_group_size_y
      - .offset:         40
        .size:           2
        .value_kind:     hidden_group_size_z
      - .offset:         42
        .size:           2
        .value_kind:     hidden_remainder_x
      - .offset:         44
        .size:           2
        .value_kind:     hidden_remainder_y
      - .offset:         46
        .size:           2
        .value_kind:     hidden_remainder_z
      - .offset:         64
        .size:           8
        .value_kind:     hidden_global_offset_x
      - .offset:         72
        .size:           8
        .value_kind:     hidden_global_offset_y
      - .offset:         80
        .size:           8
        .value_kind:     hidden_global_offset_z
      - .offset:         88
        .size:           2
        .value_kind:     hidden_grid_dims
    .group_segment_fixed_size: 8448
    .kernarg_segment_align: 8
    .kernarg_segment_size: 280
    .language:       OpenCL C
    .language_version:
      - 2
      - 0
    .max_flat_workgroup_size: 256
    .name:           _Z16operation_kernelIiLj256ELj8EL23memory_operation_method4E9operationIL16kernel_operation5EiLj8ELj256EEEvPT_S5_T3_
    .private_segment_fixed_size: 0
    .sgpr_count:     12
    .sgpr_spill_count: 0
    .symbol:         _Z16operation_kernelIiLj256ELj8EL23memory_operation_method4E9operationIL16kernel_operation5EiLj8ELj256EEEvPT_S5_T3_.kd
    .uniform_work_group_size: 1
    .uses_dynamic_stack: false
    .vgpr_count:     29
    .vgpr_spill_count: 0
    .wavefront_size: 64
amdhsa.target:   amdgcn-amd-amdhsa--gfx90a
amdhsa.version:
  - 1
  - 2
...

	.end_amdgpu_metadata
